;; amdgpu-corpus repo=ROCm/rocFFT kind=compiled arch=gfx906 opt=O3
	.text
	.amdgcn_target "amdgcn-amd-amdhsa--gfx906"
	.amdhsa_code_object_version 6
	.protected	bluestein_single_back_len1521_dim1_sp_op_CI_CI ; -- Begin function bluestein_single_back_len1521_dim1_sp_op_CI_CI
	.globl	bluestein_single_back_len1521_dim1_sp_op_CI_CI
	.p2align	8
	.type	bluestein_single_back_len1521_dim1_sp_op_CI_CI,@function
bluestein_single_back_len1521_dim1_sp_op_CI_CI: ; @bluestein_single_back_len1521_dim1_sp_op_CI_CI
; %bb.0:
	s_load_dwordx4 s[0:3], s[4:5], 0x28
	v_mul_u32_u24_e32 v1, 0x231, v0
	v_add_u32_sdwa v98, s6, v1 dst_sel:DWORD dst_unused:UNUSED_PAD src0_sel:DWORD src1_sel:WORD_1
	v_mov_b32_e32 v99, 0
	s_waitcnt lgkmcnt(0)
	v_cmp_gt_u64_e32 vcc, s[0:1], v[98:99]
	s_and_saveexec_b64 s[0:1], vcc
	s_cbranch_execz .LBB0_18
; %bb.1:
	s_load_dwordx4 s[8:11], s[4:5], 0x18
	s_load_dwordx4 s[12:15], s[4:5], 0x0
	s_movk_i32 s0, 0x75
	v_mul_lo_u16_sdwa v1, v1, s0 dst_sel:DWORD dst_unused:UNUSED_PAD src0_sel:WORD_1 src1_sel:DWORD
	v_sub_u16_e32 v122, v0, v1
	s_waitcnt lgkmcnt(0)
	s_load_dwordx4 s[16:19], s[8:9], 0x0
	v_lshlrev_b32_e32 v121, 3, v122
	s_movk_i32 s6, 0x1000
	s_mov_b32 s7, 0xbeb58ec6
	s_load_dwordx2 s[4:5], s[4:5], 0x38
	s_waitcnt lgkmcnt(0)
	v_mad_u64_u32 v[0:1], s[0:1], s18, v98, 0
	v_mad_u64_u32 v[2:3], s[0:1], s16, v122, 0
	v_mad_u64_u32 v[4:5], s[0:1], s19, v98, v[1:2]
	v_mad_u64_u32 v[5:6], s[0:1], s17, v122, v[3:4]
	v_mov_b32_e32 v1, v4
	v_lshlrev_b64 v[0:1], 3, v[0:1]
	v_mov_b32_e32 v6, s3
	v_mov_b32_e32 v3, v5
	v_add_co_u32_e32 v4, vcc, s2, v0
	v_addc_co_u32_e32 v5, vcc, v6, v1, vcc
	v_lshlrev_b64 v[0:1], 3, v[2:3]
	v_mov_b32_e32 v2, s13
	v_add_co_u32_e32 v0, vcc, v4, v0
	v_add_co_u32_e64 v70, s[2:3], s12, v121
	s_mul_i32 s0, s17, 0x3a8
	s_mul_hi_u32 s1, s16, 0x3a8
	v_addc_co_u32_e32 v1, vcc, v5, v1, vcc
	v_addc_co_u32_e64 v25, vcc, 0, v2, s[2:3]
	s_add_i32 s0, s1, s0
	s_mul_i32 s1, s16, 0x3a8
	v_mov_b32_e32 v3, s0
	v_add_co_u32_e32 v2, vcc, s1, v0
	v_addc_co_u32_e32 v3, vcc, v1, v3, vcc
	v_mov_b32_e32 v5, s0
	v_add_co_u32_e32 v4, vcc, s1, v2
	v_addc_co_u32_e32 v5, vcc, v3, v5, vcc
	;; [unrolled: 3-line block ×3, first 2 shown]
	global_load_dwordx2 v[8:9], v[0:1], off
	global_load_dwordx2 v[10:11], v[2:3], off
	;; [unrolled: 1-line block ×4, first 2 shown]
	global_load_dwordx2 v[113:114], v121, s[12:13]
	global_load_dwordx2 v[111:112], v121, s[12:13] offset:936
	global_load_dwordx2 v[107:108], v121, s[12:13] offset:1872
	;; [unrolled: 1-line block ×3, first 2 shown]
	v_mov_b32_e32 v1, s0
	v_add_co_u32_e32 v0, vcc, s1, v6
	v_addc_co_u32_e32 v1, vcc, v7, v1, vcc
	global_load_dwordx2 v[2:3], v[0:1], off
	global_load_dwordx2 v[101:102], v121, s[12:13] offset:3744
	v_mov_b32_e32 v4, s0
	v_add_co_u32_e32 v0, vcc, s1, v0
	v_addc_co_u32_e32 v1, vcc, v1, v4, vcc
	v_add_co_u32_e32 v16, vcc, s6, v70
	v_addc_co_u32_e32 v17, vcc, 0, v25, vcc
	global_load_dwordx2 v[5:6], v[0:1], off
	v_add_co_u32_e32 v0, vcc, s1, v0
	v_addc_co_u32_e32 v1, vcc, v1, v4, vcc
	global_load_dwordx2 v[18:19], v[0:1], off
	;; [unrolled: 3-line block ×4, first 2 shown]
	global_load_dwordx2 v[109:110], v[16:17], off offset:584
	global_load_dwordx2 v[105:106], v[16:17], off offset:1520
	;; [unrolled: 1-line block ×4, first 2 shown]
	v_add_co_u32_e32 v0, vcc, s1, v0
	v_addc_co_u32_e32 v1, vcc, v1, v4, vcc
	s_movk_i32 s6, 0x2000
	v_add_co_u32_e32 v24, vcc, s6, v70
	v_addc_co_u32_e32 v25, vcc, 0, v25, vcc
	global_load_dwordx2 v[16:17], v[0:1], off
	v_add_co_u32_e32 v0, vcc, s1, v0
	v_addc_co_u32_e32 v1, vcc, v1, v4, vcc
	global_load_dwordx2 v[96:97], v[24:25], off offset:232
	global_load_dwordx2 v[26:27], v[0:1], off
	global_load_dwordx2 v[92:93], v[24:25], off offset:1168
	v_add_co_u32_e32 v0, vcc, s1, v0
	v_addc_co_u32_e32 v1, vcc, v1, v4, vcc
	global_load_dwordx2 v[28:29], v[0:1], off
	global_load_dwordx2 v[90:91], v[24:25], off offset:2104
	v_add_co_u32_e32 v0, vcc, s1, v0
	v_addc_co_u32_e32 v1, vcc, v1, v4, vcc
	global_load_dwordx2 v[30:31], v[0:1], off
	global_load_dwordx2 v[88:89], v[24:25], off offset:3040
	s_load_dwordx4 s[8:11], s[10:11], 0x0
	s_mov_b32 s1, 0x3f62ad3f
	s_mov_b32 s0, 0x3f116cb1
	;; [unrolled: 1-line block ×5, first 2 shown]
	s_waitcnt vmcnt(21)
	v_mul_f32_e32 v0, v9, v114
	v_mul_f32_e32 v1, v8, v114
	s_waitcnt vmcnt(20)
	v_mul_f32_e32 v7, v11, v112
	v_mul_f32_e32 v4, v10, v112
	v_fmac_f32_e32 v0, v8, v113
	v_fma_f32 v1, v9, v113, -v1
	v_fmac_f32_e32 v7, v10, v111
	v_fma_f32 v8, v11, v111, -v4
	ds_write2_b64 v121, v[0:1], v[7:8] offset1:117
	s_waitcnt vmcnt(19)
	v_mul_f32_e32 v0, v13, v108
	v_mul_f32_e32 v1, v12, v108
	s_waitcnt vmcnt(18)
	v_mul_f32_e32 v7, v15, v104
	v_mul_f32_e32 v4, v14, v104
	v_fmac_f32_e32 v0, v12, v107
	v_fma_f32 v1, v13, v107, -v1
	v_fmac_f32_e32 v7, v14, v103
	v_fma_f32 v8, v15, v103, -v4
	v_add_u32_e32 v4, 0x400, v121
	ds_write2_b64 v4, v[0:1], v[7:8] offset0:106 offset1:223
	s_waitcnt vmcnt(16)
	v_mul_f32_e32 v0, v3, v102
	v_mul_f32_e32 v1, v2, v102
	v_fmac_f32_e32 v0, v2, v101
	v_fma_f32 v1, v3, v101, -v1
	v_add_u32_e32 v7, 0x1c00, v121
	v_add_u32_e32 v8, 0x2400, v121
	s_waitcnt vmcnt(11)
	v_mul_f32_e32 v2, v6, v110
	v_mul_f32_e32 v3, v5, v110
	v_fmac_f32_e32 v2, v5, v109
	v_fma_f32 v3, v6, v109, -v3
	v_add_u32_e32 v5, 0xc00, v121
	ds_write2_b64 v5, v[0:1], v[2:3] offset0:84 offset1:201
	s_waitcnt vmcnt(10)
	v_mul_f32_e32 v0, v19, v106
	v_mul_f32_e32 v1, v18, v106
	s_waitcnt vmcnt(9)
	v_mul_f32_e32 v2, v21, v100
	v_mul_f32_e32 v3, v20, v100
	v_fmac_f32_e32 v0, v18, v105
	v_fma_f32 v1, v19, v105, -v1
	v_fmac_f32_e32 v2, v20, v99
	v_fma_f32 v3, v21, v99, -v3
	v_add_u32_e32 v6, 0x1400, v121
	ds_write2_b64 v6, v[0:1], v[2:3] offset0:62 offset1:179
	s_waitcnt vmcnt(8)
	v_mul_f32_e32 v0, v23, v95
	v_mul_f32_e32 v1, v22, v95
	s_waitcnt vmcnt(6)
	v_mul_f32_e32 v2, v17, v97
	v_mul_f32_e32 v3, v16, v97
	v_fmac_f32_e32 v0, v22, v94
	v_fma_f32 v1, v23, v94, -v1
	v_fmac_f32_e32 v2, v16, v96
	v_fma_f32 v3, v17, v96, -v3
	ds_write2_b64 v7, v[0:1], v[2:3] offset0:40 offset1:157
	s_waitcnt vmcnt(4)
	v_mul_f32_e32 v0, v27, v93
	v_mul_f32_e32 v1, v26, v93
	s_waitcnt vmcnt(2)
	v_mul_f32_e32 v2, v29, v91
	v_mul_f32_e32 v3, v28, v91
	v_fmac_f32_e32 v0, v26, v92
	v_fma_f32 v1, v27, v92, -v1
	v_fmac_f32_e32 v2, v28, v90
	v_fma_f32 v3, v29, v90, -v3
	ds_write2_b64 v8, v[0:1], v[2:3] offset0:18 offset1:135
	s_waitcnt vmcnt(0)
	v_mul_f32_e32 v0, v31, v89
	v_mul_f32_e32 v1, v30, v89
	v_fmac_f32_e32 v0, v30, v88
	v_fma_f32 v1, v31, v88, -v1
	ds_write_b64 v121, v[0:1] offset:11232
	s_waitcnt lgkmcnt(0)
	s_barrier
	ds_read2_b64 v[9:12], v121 offset1:117
	ds_read2_b64 v[13:16], v4 offset0:106 offset1:223
	ds_read2_b64 v[17:20], v5 offset0:84 offset1:201
	;; [unrolled: 1-line block ×5, first 2 shown]
	ds_read_b64 v[29:30], v121 offset:11232
	s_waitcnt lgkmcnt(6)
	v_add_f32_e32 v31, v9, v11
	v_add_f32_e32 v32, v10, v12
	s_waitcnt lgkmcnt(5)
	v_add_f32_e32 v31, v31, v13
	v_add_f32_e32 v32, v32, v14
	v_add_f32_e32 v31, v31, v15
	v_add_f32_e32 v32, v32, v16
	s_waitcnt lgkmcnt(4)
	v_add_f32_e32 v31, v31, v17
	v_add_f32_e32 v32, v32, v18
	;; [unrolled: 5-line block ×4, first 2 shown]
	v_add_f32_e32 v31, v31, v23
	v_add_f32_e32 v32, v32, v24
	s_waitcnt lgkmcnt(1)
	v_add_f32_e32 v31, v31, v25
	s_waitcnt lgkmcnt(0)
	v_add_f32_e32 v33, v29, v11
	v_add_f32_e32 v34, v30, v12
	v_sub_f32_e32 v11, v11, v29
	v_sub_f32_e32 v12, v12, v30
	v_add_f32_e32 v32, v32, v26
	v_add_f32_e32 v31, v31, v27
	v_mul_f32_e32 v35, 0xbeedf032, v12
	v_mul_f32_e32 v37, 0xbeedf032, v11
	;; [unrolled: 1-line block ×3, first 2 shown]
	v_add_f32_e32 v40, v27, v13
	v_sub_f32_e32 v13, v13, v27
	v_add_f32_e32 v27, v25, v15
	v_sub_f32_e32 v15, v15, v25
	v_mul_f32_e32 v25, 0xbf7e222b, v12
	v_mul_f32_e32 v42, 0xbf6f5d39, v12
	v_mul_f32_e32 v44, 0xbf29c268, v12
	v_mul_f32_e32 v12, 0xbe750f2a, v12
	v_mul_f32_e32 v47, 0xbf52af12, v11
	v_mul_f32_e32 v49, 0xbf7e222b, v11
	v_mul_f32_e32 v51, 0xbf6f5d39, v11
	v_mul_f32_e32 v53, 0xbf29c268, v11
	v_mul_f32_e32 v11, 0xbe750f2a, v11
	v_add_f32_e32 v32, v32, v28
	v_fma_f32 v36, v33, s1, -v35
	v_fmac_f32_e32 v35, 0x3f62ad3f, v33
	v_fma_f32 v39, v33, s0, -v38
	v_fmac_f32_e32 v38, 0x3f116cb1, v33
	v_add_f32_e32 v41, v28, v14
	v_sub_f32_e32 v14, v14, v28
	v_add_f32_e32 v28, v26, v16
	v_sub_f32_e32 v16, v16, v26
	v_fma_f32 v26, v33, s6, -v25
	v_fmac_f32_e32 v25, 0x3df6dbef, v33
	v_fma_f32 v43, v33, s7, -v42
	v_fmac_f32_e32 v42, 0xbeb58ec6, v33
	v_fma_f32 v45, v33, s12, -v44
	v_fmac_f32_e32 v44, 0xbf3f9e67, v33
	v_fma_f32 v46, v33, s16, -v12
	v_fmac_f32_e32 v12, 0xbf788fa5, v33
	v_mov_b32_e32 v33, v37
	v_fma_f32 v37, v34, s1, -v37
	v_mov_b32_e32 v48, v47
	v_mov_b32_e32 v50, v49
	;; [unrolled: 1-line block ×5, first 2 shown]
	v_fmac_f32_e32 v33, 0x3f62ad3f, v34
	v_fmac_f32_e32 v48, 0x3f116cb1, v34
	v_fma_f32 v47, v34, s0, -v47
	v_fmac_f32_e32 v50, 0x3df6dbef, v34
	v_fma_f32 v49, v34, s6, -v49
	v_fmac_f32_e32 v52, 0xbeb58ec6, v34
	v_fma_f32 v51, v34, s7, -v51
	v_fmac_f32_e32 v54, 0xbf3f9e67, v34
	v_fma_f32 v53, v34, s12, -v53
	v_fmac_f32_e32 v55, 0xbf788fa5, v34
	v_fma_f32 v11, v34, s16, -v11
	v_add_f32_e32 v34, v9, v36
	v_add_f32_e32 v35, v9, v35
	;; [unrolled: 1-line block ×14, first 2 shown]
	v_mul_f32_e32 v31, 0xbf52af12, v13
	v_add_f32_e32 v33, v10, v33
	v_add_f32_e32 v39, v10, v48
	;; [unrolled: 1-line block ×12, first 2 shown]
	v_mov_b32_e32 v32, v31
	v_mul_f32_e32 v29, 0xbf52af12, v14
	v_fmac_f32_e32 v32, 0x3f116cb1, v41
	v_fma_f32 v30, v40, s0, -v29
	v_add_f32_e32 v32, v32, v33
	v_mul_f32_e32 v33, 0xbf6f5d39, v14
	v_add_f32_e32 v30, v30, v34
	v_fmac_f32_e32 v29, 0x3f116cb1, v40
	v_fma_f32 v34, v40, s7, -v33
	v_add_f32_e32 v29, v29, v35
	v_fma_f32 v31, v41, s0, -v31
	v_add_f32_e32 v34, v34, v37
	v_mul_f32_e32 v35, 0xbf6f5d39, v13
	v_fmac_f32_e32 v33, 0xbeb58ec6, v40
	v_mul_f32_e32 v37, 0xbe750f2a, v14
	v_add_f32_e32 v31, v31, v36
	v_mov_b32_e32 v36, v35
	v_add_f32_e32 v33, v33, v38
	v_fma_f32 v38, v40, s16, -v37
	v_fmac_f32_e32 v36, 0xbeb58ec6, v41
	v_add_f32_e32 v26, v38, v26
	v_mul_f32_e32 v38, 0xbe750f2a, v13
	v_fmac_f32_e32 v37, 0xbf788fa5, v40
	v_add_f32_e32 v36, v36, v39
	v_fma_f32 v35, v41, s7, -v35
	v_mov_b32_e32 v39, v38
	v_add_f32_e32 v25, v37, v25
	v_fma_f32 v37, v41, s16, -v38
	v_mul_f32_e32 v38, 0x3f29c268, v14
	v_add_f32_e32 v35, v35, v47
	v_fma_f32 v47, v40, s12, -v38
	v_fmac_f32_e32 v39, 0xbf788fa5, v41
	v_add_f32_e32 v43, v47, v43
	v_mul_f32_e32 v47, 0x3f29c268, v13
	v_fmac_f32_e32 v38, 0xbf3f9e67, v40
	v_add_f32_e32 v39, v39, v48
	v_mov_b32_e32 v48, v47
	v_add_f32_e32 v38, v38, v42
	v_fma_f32 v42, v41, s12, -v47
	v_mul_f32_e32 v47, 0x3f7e222b, v14
	v_add_f32_e32 v37, v37, v49
	v_fma_f32 v49, v40, s6, -v47
	v_fmac_f32_e32 v48, 0xbf3f9e67, v41
	v_add_f32_e32 v45, v49, v45
	v_mul_f32_e32 v49, 0x3f7e222b, v13
	v_fmac_f32_e32 v47, 0x3df6dbef, v40
	v_mul_f32_e32 v14, 0x3eedf032, v14
	v_add_f32_e32 v48, v48, v50
	v_mov_b32_e32 v50, v49
	v_add_f32_e32 v44, v47, v44
	v_fma_f32 v47, v41, s6, -v49
	v_fma_f32 v49, v40, s1, -v14
	v_mul_f32_e32 v13, 0x3eedf032, v13
	v_add_f32_e32 v46, v49, v46
	v_mov_b32_e32 v49, v13
	v_fma_f32 v13, v41, s1, -v13
	v_fmac_f32_e32 v14, 0x3f62ad3f, v40
	v_add_f32_e32 v11, v13, v11
	v_mul_f32_e32 v13, 0xbf7e222b, v16
	v_add_f32_e32 v12, v14, v12
	v_fma_f32 v14, v27, s6, -v13
	v_add_f32_e32 v14, v14, v30
	v_mul_f32_e32 v30, 0xbf7e222b, v15
	v_fmac_f32_e32 v13, 0x3df6dbef, v27
	v_mov_b32_e32 v40, v30
	v_add_f32_e32 v13, v13, v29
	v_fma_f32 v29, v28, s6, -v30
	v_mul_f32_e32 v30, 0xbe750f2a, v16
	v_add_f32_e32 v29, v29, v31
	v_fma_f32 v31, v27, s16, -v30
	v_fmac_f32_e32 v40, 0x3df6dbef, v28
	v_add_f32_e32 v31, v31, v34
	v_mul_f32_e32 v34, 0xbe750f2a, v15
	v_fmac_f32_e32 v30, 0xbf788fa5, v27
	v_add_f32_e32 v32, v40, v32
	v_mov_b32_e32 v40, v34
	v_add_f32_e32 v30, v30, v33
	v_fma_f32 v33, v28, s16, -v34
	v_mul_f32_e32 v34, 0x3f6f5d39, v16
	v_add_f32_e32 v33, v33, v35
	v_fma_f32 v35, v27, s7, -v34
	v_fmac_f32_e32 v40, 0xbf788fa5, v28
	v_add_f32_e32 v26, v35, v26
	v_mul_f32_e32 v35, 0x3f6f5d39, v15
	v_add_f32_e32 v36, v40, v36
	v_mov_b32_e32 v40, v35
	v_fmac_f32_e32 v34, 0xbeb58ec6, v27
	v_fmac_f32_e32 v40, 0xbeb58ec6, v28
	v_add_f32_e32 v25, v34, v25
	v_fma_f32 v34, v28, s7, -v35
	v_mul_f32_e32 v35, 0x3eedf032, v16
	v_add_f32_e32 v39, v40, v39
	v_add_f32_e32 v34, v34, v37
	v_fma_f32 v37, v27, s1, -v35
	v_mul_f32_e32 v40, 0x3eedf032, v15
	v_fmac_f32_e32 v35, 0x3f62ad3f, v27
	v_add_f32_e32 v42, v42, v51
	v_fmac_f32_e32 v50, 0x3df6dbef, v41
	v_fmac_f32_e32 v49, 0x3f62ad3f, v41
	v_mov_b32_e32 v41, v40
	v_add_f32_e32 v35, v35, v38
	v_fma_f32 v38, v28, s1, -v40
	v_mul_f32_e32 v40, 0xbf52af12, v16
	v_add_f32_e32 v38, v38, v42
	v_fma_f32 v42, v27, s0, -v40
	v_fmac_f32_e32 v40, 0x3f116cb1, v27
	v_mul_f32_e32 v16, 0xbf29c268, v16
	v_add_f32_e32 v37, v37, v43
	v_mul_f32_e32 v43, 0xbf52af12, v15
	v_add_f32_e32 v40, v40, v44
	v_fma_f32 v44, v27, s12, -v16
	v_mul_f32_e32 v15, 0xbf29c268, v15
	v_fmac_f32_e32 v16, 0xbf3f9e67, v27
	v_add_f32_e32 v44, v44, v46
	v_mov_b32_e32 v46, v15
	v_add_f32_e32 v12, v16, v12
	v_fma_f32 v15, v28, s12, -v15
	v_add_f32_e32 v16, v24, v18
	v_sub_f32_e32 v18, v18, v24
	v_add_f32_e32 v11, v15, v11
	v_add_f32_e32 v15, v23, v17
	v_sub_f32_e32 v17, v17, v23
	v_mul_f32_e32 v23, 0xbf6f5d39, v18
	v_fma_f32 v24, v15, s7, -v23
	v_add_f32_e32 v14, v24, v14
	v_mul_f32_e32 v24, 0xbf6f5d39, v17
	v_fmac_f32_e32 v23, 0xbeb58ec6, v15
	v_add_f32_e32 v42, v42, v45
	v_mov_b32_e32 v45, v43
	v_mov_b32_e32 v27, v24
	v_add_f32_e32 v13, v23, v13
	v_fma_f32 v23, v16, s7, -v24
	v_mul_f32_e32 v24, 0x3f29c268, v18
	v_fmac_f32_e32 v41, 0x3f62ad3f, v28
	v_fmac_f32_e32 v45, 0x3f116cb1, v28
	v_fma_f32 v43, v28, s0, -v43
	v_fmac_f32_e32 v46, 0xbf3f9e67, v28
	v_fma_f32 v28, v15, s12, -v24
	v_fmac_f32_e32 v24, 0xbf3f9e67, v15
	v_fmac_f32_e32 v27, 0xbeb58ec6, v16
	v_add_f32_e32 v24, v24, v30
	v_mul_f32_e32 v30, 0x3eedf032, v18
	v_add_f32_e32 v27, v27, v32
	v_add_f32_e32 v23, v23, v29
	v_mul_f32_e32 v29, 0x3f29c268, v17
	v_fma_f32 v32, v15, s1, -v30
	v_add_f32_e32 v28, v28, v31
	v_mov_b32_e32 v31, v29
	v_fma_f32 v29, v16, s12, -v29
	v_add_f32_e32 v26, v32, v26
	v_mul_f32_e32 v32, 0x3eedf032, v17
	v_fmac_f32_e32 v30, 0x3f62ad3f, v15
	v_fmac_f32_e32 v31, 0xbf3f9e67, v16
	v_add_f32_e32 v29, v29, v33
	v_mov_b32_e32 v33, v32
	v_add_f32_e32 v25, v30, v25
	v_fma_f32 v30, v16, s1, -v32
	v_mul_f32_e32 v32, 0xbf7e222b, v18
	v_add_f32_e32 v31, v31, v36
	v_add_f32_e32 v30, v30, v34
	v_fma_f32 v34, v15, s6, -v32
	v_mul_f32_e32 v36, 0xbf7e222b, v17
	v_fmac_f32_e32 v32, 0x3df6dbef, v15
	v_add_f32_e32 v34, v34, v37
	v_mov_b32_e32 v37, v36
	v_add_f32_e32 v32, v32, v35
	v_fma_f32 v35, v16, s6, -v36
	v_mul_f32_e32 v36, 0x3e750f2a, v18
	v_fmac_f32_e32 v33, 0x3f62ad3f, v16
	v_add_f32_e32 v35, v35, v38
	v_fma_f32 v38, v15, s16, -v36
	v_fmac_f32_e32 v36, 0xbf788fa5, v15
	v_mul_f32_e32 v18, 0x3f52af12, v18
	v_add_f32_e32 v33, v33, v39
	v_mul_f32_e32 v39, 0x3e750f2a, v17
	v_add_f32_e32 v36, v36, v40
	v_fma_f32 v40, v15, s0, -v18
	v_mul_f32_e32 v17, 0x3f52af12, v17
	v_fmac_f32_e32 v18, 0x3f116cb1, v15
	v_add_f32_e32 v41, v41, v48
	v_fmac_f32_e32 v37, 0x3df6dbef, v16
	v_add_f32_e32 v12, v18, v12
	v_fma_f32 v15, v16, s0, -v17
	v_sub_f32_e32 v18, v20, v22
	v_add_f32_e32 v37, v37, v41
	v_add_f32_e32 v38, v38, v42
	v_mov_b32_e32 v41, v39
	v_mov_b32_e32 v42, v17
	v_add_f32_e32 v11, v15, v11
	v_add_f32_e32 v15, v21, v19
	v_sub_f32_e32 v17, v19, v21
	v_mul_f32_e32 v19, 0xbf29c268, v18
	v_fmac_f32_e32 v41, 0xbf788fa5, v16
	v_fma_f32 v39, v16, s16, -v39
	v_fmac_f32_e32 v42, 0x3f116cb1, v16
	v_add_f32_e32 v16, v22, v20
	v_fma_f32 v20, v15, s12, -v19
	v_add_f32_e32 v14, v20, v14
	v_mul_f32_e32 v20, 0xbf29c268, v17
	v_fmac_f32_e32 v19, 0xbf3f9e67, v15
	v_mov_b32_e32 v21, v20
	v_add_f32_e32 v13, v19, v13
	v_fma_f32 v19, v16, s12, -v20
	v_mul_f32_e32 v20, 0x3f7e222b, v18
	v_fma_f32 v22, v15, s6, -v20
	v_fmac_f32_e32 v20, 0x3df6dbef, v15
	v_add_f32_e32 v20, v20, v24
	v_mul_f32_e32 v24, 0xbf52af12, v18
	v_fmac_f32_e32 v21, 0xbf3f9e67, v16
	v_add_f32_e32 v19, v19, v23
	v_add_f32_e32 v22, v22, v28
	v_mul_f32_e32 v23, 0x3f7e222b, v17
	v_fma_f32 v28, v15, s0, -v24
	v_add_f32_e32 v21, v21, v27
	v_mov_b32_e32 v27, v23
	v_fma_f32 v23, v16, s6, -v23
	v_add_f32_e32 v26, v28, v26
	v_mul_f32_e32 v28, 0xbf52af12, v17
	v_fmac_f32_e32 v27, 0x3df6dbef, v16
	v_add_f32_e32 v23, v23, v29
	v_mov_b32_e32 v29, v28
	v_fmac_f32_e32 v24, 0x3f116cb1, v15
	v_add_f32_e32 v27, v27, v31
	v_fmac_f32_e32 v29, 0x3f116cb1, v16
	v_add_f32_e32 v24, v24, v25
	v_fma_f32 v25, v16, s0, -v28
	v_mul_f32_e32 v28, 0x3e750f2a, v18
	v_mul_f32_e32 v31, 0x3e750f2a, v17
	v_add_f32_e32 v29, v29, v33
	v_add_f32_e32 v25, v25, v30
	v_fma_f32 v30, v15, s16, -v28
	v_mov_b32_e32 v33, v31
	v_fmac_f32_e32 v28, 0xbf788fa5, v15
	v_fma_f32 v31, v16, s16, -v31
	v_add_f32_e32 v50, v50, v52
	v_fmac_f32_e32 v33, 0xbf788fa5, v16
	v_add_f32_e32 v28, v28, v32
	v_add_f32_e32 v31, v31, v35
	v_mul_f32_e32 v32, 0x3eedf032, v18
	v_mul_f32_e32 v35, 0x3eedf032, v17
	v_add_f32_e32 v47, v47, v53
	v_add_f32_e32 v49, v49, v54
	v_add_f32_e32 v45, v45, v50
	v_add_f32_e32 v30, v30, v34
	v_add_f32_e32 v33, v33, v37
	v_fma_f32 v34, v15, s1, -v32
	v_mov_b32_e32 v37, v35
	v_mul_f32_e32 v17, 0xbf6f5d39, v17
	v_add_f32_e32 v43, v43, v47
	v_add_f32_e32 v46, v46, v49
	;; [unrolled: 1-line block ×5, first 2 shown]
	v_fmac_f32_e32 v37, 0x3f62ad3f, v16
	v_mov_b32_e32 v38, v17
	v_sub_f32_e32 v44, v1, v3
	v_add_f32_e32 v39, v39, v43
	v_add_f32_e32 v42, v42, v46
	;; [unrolled: 1-line block ×3, first 2 shown]
	v_fmac_f32_e32 v32, 0x3f62ad3f, v15
	v_mul_f32_e32 v18, 0xbf6f5d39, v18
	v_fmac_f32_e32 v38, 0xbeb58ec6, v16
	v_add_f32_e32 v41, v2, v0
	v_sub_f32_e32 v43, v0, v2
	v_mul_f32_e32 v2, 0xbe750f2a, v44
	v_add_f32_e32 v32, v32, v36
	v_fma_f32 v35, v16, s1, -v35
	v_fma_f32 v36, v15, s7, -v18
	v_add_f32_e32 v38, v38, v42
	v_fmac_f32_e32 v18, 0xbeb58ec6, v15
	v_add_f32_e32 v42, v3, v1
	v_fma_f32 v0, v41, s16, -v2
	v_mul_f32_e32 v3, 0xbe750f2a, v43
	v_fmac_f32_e32 v2, 0xbf788fa5, v41
	v_add_f32_e32 v35, v35, v39
	v_add_f32_e32 v39, v18, v12
	v_fma_f32 v12, v16, s7, -v17
	v_add_f32_e32 v64, v2, v13
	v_fma_f32 v2, v42, s16, -v3
	v_add_f32_e32 v36, v36, v40
	v_add_f32_e32 v40, v12, v11
	;; [unrolled: 1-line block ×3, first 2 shown]
	v_mul_f32_e32 v12, 0x3eedf032, v43
	v_mul_f32_e32 v15, 0xbf29c268, v44
	;; [unrolled: 1-line block ×3, first 2 shown]
	v_mov_b32_e32 v1, v3
	v_mul_f32_e32 v11, 0x3eedf032, v44
	v_mov_b32_e32 v3, v12
	v_fma_f32 v13, v41, s12, -v15
	v_mul_f32_e32 v16, 0xbf29c268, v43
	v_fmac_f32_e32 v15, 0xbf3f9e67, v41
	v_fma_f32 v17, v41, s0, -v19
	v_fmac_f32_e32 v19, 0x3f116cb1, v41
	v_add_f32_e32 v0, v0, v14
	v_fma_f32 v2, v41, s1, -v11
	v_fmac_f32_e32 v3, 0x3f62ad3f, v42
	v_fmac_f32_e32 v11, 0x3f62ad3f, v41
	v_fma_f32 v12, v42, s1, -v12
	v_mov_b32_e32 v14, v16
	v_add_f32_e32 v15, v15, v24
	v_add_f32_e32 v19, v19, v28
	v_mul_f32_e32 v24, 0xbf6f5d39, v43
	v_mul_f32_e32 v28, 0x3f7e222b, v43
	v_fmac_f32_e32 v1, 0xbf788fa5, v42
	v_add_f32_e32 v2, v2, v22
	v_add_f32_e32 v3, v3, v27
	;; [unrolled: 1-line block ×5, first 2 shown]
	v_fmac_f32_e32 v14, 0xbf3f9e67, v42
	v_fma_f32 v16, v42, s12, -v16
	v_mul_f32_e32 v20, 0x3f52af12, v43
	v_mul_f32_e32 v23, 0xbf6f5d39, v44
	v_mov_b32_e32 v22, v24
	v_mul_f32_e32 v27, 0x3f7e222b, v44
	v_mov_b32_e32 v26, v28
	v_add_f32_e32 v1, v1, v21
	v_add_f32_e32 v14, v14, v29
	;; [unrolled: 1-line block ×3, first 2 shown]
	v_mov_b32_e32 v18, v20
	v_fma_f32 v20, v42, s0, -v20
	v_fma_f32 v21, v41, s7, -v23
	v_fmac_f32_e32 v22, 0xbeb58ec6, v42
	v_fmac_f32_e32 v23, 0xbeb58ec6, v41
	v_fma_f32 v24, v42, s7, -v24
	v_fma_f32 v25, v41, s6, -v27
	v_fmac_f32_e32 v26, 0x3df6dbef, v42
	v_fmac_f32_e32 v27, 0x3df6dbef, v41
	v_fma_f32 v28, v42, s6, -v28
	v_mul_lo_u16_e32 v29, 13, v122
	v_fmac_f32_e32 v18, 0x3f116cb1, v42
	v_add_f32_e32 v20, v20, v31
	v_add_f32_e32 v21, v21, v34
	;; [unrolled: 1-line block ×9, first 2 shown]
	v_lshlrev_b32_e32 v71, 3, v29
	v_add_f32_e32 v17, v17, v30
	v_add_f32_e32 v18, v18, v33
	s_barrier
	ds_write2_b64 v71, v[9:10], v[0:1] offset1:1
	ds_write2_b64 v71, v[2:3], v[13:14] offset0:2 offset1:3
	ds_write2_b64 v71, v[17:18], v[21:22] offset0:4 offset1:5
	;; [unrolled: 1-line block ×5, first 2 shown]
	ds_write_b64 v71, v[64:65] offset:96
	s_waitcnt lgkmcnt(0)
	s_barrier
	ds_read2_b64 v[24:27], v121 offset1:117
	ds_read2_b64 v[36:39], v5 offset0:123 offset1:240
	ds_read2_b64 v[40:43], v7 offset0:118 offset1:235
	;; [unrolled: 1-line block ×5, first 2 shown]
	v_cmp_gt_u16_e64 s[0:1], 39, v122
                                        ; implicit-def: $vgpr44
                                        ; implicit-def: $vgpr46
	s_and_saveexec_b64 s[6:7], s[0:1]
	s_cbranch_execz .LBB0_3
; %bb.2:
	ds_read_b64 v[64:65], v121 offset:3744
	ds_read_b64 v[44:45], v121 offset:7800
	;; [unrolled: 1-line block ×3, first 2 shown]
.LBB0_3:
	s_or_b64 exec, exec, s[6:7]
	s_movk_i32 s6, 0x4f
	v_mul_lo_u16_sdwa v0, v122, s6 dst_sel:DWORD dst_unused:UNUSED_PAD src0_sel:BYTE_0 src1_sel:DWORD
	v_lshrrev_b16_e32 v48, 10, v0
	v_mul_lo_u16_e32 v0, 13, v48
	v_sub_u16_e32 v0, v122, v0
	v_add_u16_e32 v72, 0x75, v122
	v_and_b32_e32 v49, 0xff, v0
	v_mul_lo_u16_sdwa v0, v72, s6 dst_sel:DWORD dst_unused:UNUSED_PAD src0_sel:BYTE_0 src1_sel:DWORD
	v_lshrrev_b16_e32 v50, 10, v0
	v_mul_lo_u16_e32 v0, 13, v50
	v_sub_u16_e32 v0, v72, v0
	s_movk_i32 s7, 0x15f
	v_add_co_u32_e32 v73, vcc, 0xea, v122
	v_lshlrev_b32_e32 v8, 4, v49
	v_and_b32_e32 v51, 0xff, v0
	s_movk_i32 s6, 0x4ec5
	v_add_co_u32_e32 v75, vcc, s7, v122
	v_lshlrev_b32_e32 v9, 4, v51
	global_load_dwordx4 v[4:7], v8, s[14:15]
	global_load_dwordx4 v[0:3], v9, s[14:15]
	v_mul_u32_u24_sdwa v8, v73, s6 dst_sel:DWORD dst_unused:UNUSED_PAD src0_sel:WORD_0 src1_sel:DWORD
	v_mul_u32_u24_sdwa v16, v75, s6 dst_sel:DWORD dst_unused:UNUSED_PAD src0_sel:WORD_0 src1_sel:DWORD
	v_lshrrev_b32_e32 v52, 18, v8
	v_add_u16_e32 v74, 0x1d4, v122
	v_lshrrev_b32_e32 v54, 18, v16
	v_mul_lo_u16_e32 v8, 13, v52
	v_mul_u32_u24_e32 v9, 0x4ec5, v74
	v_mul_lo_u16_e32 v16, 13, v54
	v_sub_u16_e32 v53, v73, v8
	v_lshrrev_b32_e32 v123, 18, v9
	v_sub_u16_e32 v55, v75, v16
	v_lshlrev_b16_e32 v8, 1, v53
	v_mul_lo_u16_e32 v9, 13, v123
	v_lshlrev_b16_e32 v16, 1, v55
	v_lshlrev_b32_e32 v8, 3, v8
	v_sub_u16_e32 v124, v74, v9
	v_lshlrev_b32_e32 v16, 3, v16
	global_load_dwordx4 v[12:15], v8, s[14:15]
	s_waitcnt vmcnt(2) lgkmcnt(4)
	v_mul_f32_e32 v56, v37, v5
	global_load_dwordx4 v[16:19], v16, s[14:15]
	v_lshlrev_b16_e32 v8, 1, v124
	v_lshlrev_b32_e32 v8, 3, v8
	global_load_dwordx4 v[8:11], v8, s[14:15]
	v_mul_f32_e32 v57, v36, v5
	s_waitcnt lgkmcnt(3)
	v_mul_f32_e32 v58, v41, v7
	v_fma_f32 v36, v36, v4, -v56
	v_fmac_f32_e32 v57, v37, v4
	v_fma_f32 v37, v40, v6, -v58
	v_mul_f32_e32 v59, v40, v7
	s_waitcnt vmcnt(3)
	v_mul_f32_e32 v63, v42, v3
	v_mul_f32_e32 v62, v43, v3
	v_fmac_f32_e32 v59, v41, v6
	v_fmac_f32_e32 v63, v43, v2
	v_mul_f32_e32 v60, v39, v1
	v_mul_f32_e32 v61, v38, v1
	v_fma_f32 v38, v38, v0, -v60
	v_fmac_f32_e32 v61, v39, v0
	s_waitcnt vmcnt(2) lgkmcnt(1)
	v_mul_f32_e32 v67, v28, v13
	v_mul_f32_e32 v66, v29, v13
	v_fmac_f32_e32 v67, v29, v12
	v_fma_f32 v40, v28, v12, -v66
	s_waitcnt lgkmcnt(0)
	v_mul_f32_e32 v68, v33, v15
	v_mul_f32_e32 v69, v32, v15
	v_fma_f32 v39, v42, v2, -v62
	v_fma_f32 v41, v32, v14, -v68
	v_add_f32_e32 v32, v25, v57
	v_fmac_f32_e32 v69, v33, v14
	v_add_f32_e32 v33, v38, v39
	s_waitcnt vmcnt(0)
	s_barrier
	v_mul_f32_e32 v29, v35, v19
	v_mul_f32_e32 v28, v31, v17
	;; [unrolled: 1-line block ×6, first 2 shown]
	v_fmac_f32_e32 v79, v47, v10
	v_fma_f32 v47, v34, v18, -v29
	v_add_f32_e32 v29, v36, v37
	v_mul_f32_e32 v76, v45, v9
	v_fmac_f32_e32 v77, v45, v8
	v_fma_f32 v45, v46, v10, -v78
	v_fma_f32 v46, v30, v16, -v28
	v_add_f32_e32 v28, v24, v36
	v_fma_f32 v24, -0.5, v29, v24
	v_fmac_f32_e32 v43, v31, v16
	v_sub_f32_e32 v31, v57, v59
	v_mov_b32_e32 v30, v24
	v_fmac_f32_e32 v24, 0xbf5db3d7, v31
	v_fmac_f32_e32 v30, 0x3f5db3d7, v31
	v_add_f32_e32 v31, v57, v59
	v_fma_f32 v25, -0.5, v31, v25
	v_add_f32_e32 v29, v32, v59
	v_sub_f32_e32 v32, v36, v37
	v_mov_b32_e32 v31, v25
	v_mul_f32_e32 v56, v34, v19
	v_fmac_f32_e32 v31, 0xbf5db3d7, v32
	v_fmac_f32_e32 v25, 0x3f5db3d7, v32
	v_add_f32_e32 v32, v26, v38
	v_fma_f32 v26, -0.5, v33, v26
	v_fmac_f32_e32 v56, v35, v18
	v_sub_f32_e32 v33, v61, v63
	v_mov_b32_e32 v34, v26
	v_add_f32_e32 v35, v61, v63
	v_fmac_f32_e32 v34, 0x3f5db3d7, v33
	v_fmac_f32_e32 v26, 0xbf5db3d7, v33
	v_add_f32_e32 v33, v27, v61
	v_fmac_f32_e32 v27, -0.5, v35
	v_add_f32_e32 v28, v28, v37
	v_sub_f32_e32 v36, v38, v39
	v_mov_b32_e32 v35, v27
	v_add_f32_e32 v37, v40, v41
	v_fmac_f32_e32 v35, 0xbf5db3d7, v36
	v_fmac_f32_e32 v27, 0x3f5db3d7, v36
	v_add_f32_e32 v36, v20, v40
	v_fma_f32 v20, -0.5, v37, v20
	v_add_f32_e32 v32, v32, v39
	v_sub_f32_e32 v37, v67, v69
	v_mov_b32_e32 v38, v20
	v_add_f32_e32 v39, v67, v69
	v_fmac_f32_e32 v38, 0x3f5db3d7, v37
	v_fmac_f32_e32 v20, 0xbf5db3d7, v37
	v_add_f32_e32 v37, v21, v67
	v_fma_f32 v21, -0.5, v39, v21
	v_add_f32_e32 v36, v36, v41
	v_sub_f32_e32 v40, v40, v41
	v_mov_b32_e32 v39, v21
	v_add_f32_e32 v41, v46, v47
	v_fmac_f32_e32 v39, 0xbf5db3d7, v40
	v_fmac_f32_e32 v21, 0x3f5db3d7, v40
	v_add_f32_e32 v40, v22, v46
	v_fma_f32 v22, -0.5, v41, v22
	v_sub_f32_e32 v41, v43, v56
	v_mov_b32_e32 v42, v22
	v_fmac_f32_e32 v42, 0x3f5db3d7, v41
	v_fmac_f32_e32 v22, 0xbf5db3d7, v41
	v_add_f32_e32 v41, v23, v43
	v_add_f32_e32 v43, v43, v56
	v_fmac_f32_e32 v23, -0.5, v43
	v_fma_f32 v44, v44, v8, -v76
	v_sub_f32_e32 v46, v46, v47
	v_mov_b32_e32 v43, v23
	v_fmac_f32_e32 v43, 0xbf5db3d7, v46
	v_fmac_f32_e32 v23, 0x3f5db3d7, v46
	v_add_f32_e32 v46, v64, v44
	v_add_f32_e32 v66, v46, v45
	;; [unrolled: 1-line block ×3, first 2 shown]
	v_fmac_f32_e32 v64, -0.5, v46
	v_sub_f32_e32 v46, v77, v79
	v_mov_b32_e32 v68, v64
	v_fmac_f32_e32 v68, 0x3f5db3d7, v46
	v_fmac_f32_e32 v64, 0xbf5db3d7, v46
	v_add_f32_e32 v46, v65, v77
	v_add_f32_e32 v67, v46, v79
	;; [unrolled: 1-line block ×3, first 2 shown]
	v_fmac_f32_e32 v65, -0.5, v46
	v_add_f32_e32 v37, v37, v69
	v_sub_f32_e32 v44, v44, v45
	v_mov_b32_e32 v69, v65
	v_fmac_f32_e32 v69, 0xbf5db3d7, v44
	v_fmac_f32_e32 v65, 0x3f5db3d7, v44
	v_mul_u32_u24_e32 v44, 39, v48
	v_add_lshl_u32 v125, v44, v49, 3
	ds_write2_b64 v125, v[28:29], v[30:31] offset1:13
	ds_write_b64 v125, v[24:25] offset:208
	v_mul_u32_u24_e32 v24, 39, v50
	v_add_lshl_u32 v126, v24, v51, 3
	v_mad_legacy_u16 v24, v52, 39, v53
	v_add_f32_e32 v33, v33, v63
	v_lshlrev_b32_e32 v127, 3, v24
	ds_write2_b64 v126, v[32:33], v[34:35] offset1:13
	ds_write_b64 v126, v[26:27] offset:208
	ds_write2_b64 v127, v[36:37], v[38:39] offset1:13
	ds_write_b64 v127, v[20:21] offset:208
	v_mad_legacy_u16 v20, v54, 39, v55
	v_add_f32_e32 v40, v40, v47
	v_add_f32_e32 v41, v41, v56
	v_lshlrev_b32_e32 v128, 3, v20
	ds_write2_b64 v128, v[40:41], v[42:43] offset1:13
	ds_write_b64 v128, v[22:23] offset:208
	s_and_saveexec_b64 s[6:7], s[0:1]
	s_cbranch_execz .LBB0_5
; %bb.4:
	v_mad_legacy_u16 v20, v123, 39, v124
	v_lshlrev_b32_e32 v20, 3, v20
	ds_write2_b64 v20, v[66:67], v[68:69] offset1:13
	ds_write_b64 v20, v[64:65] offset:208
.LBB0_5:
	s_or_b64 exec, exec, s[6:7]
	v_add_u32_e32 v20, 0xc00, v121
	s_waitcnt lgkmcnt(0)
	s_barrier
	ds_read2_b64 v[48:51], v20 offset0:123 offset1:240
	v_add_u32_e32 v20, 0x1c00, v121
	ds_read2_b64 v[52:55], v20 offset0:118 offset1:235
	v_add_u32_e32 v20, 0x400, v121
	;; [unrolled: 2-line block ×4, first 2 shown]
	ds_read2_b64 v[44:47], v121 offset1:117
	ds_read2_b64 v[56:59], v20 offset0:96 offset1:213
	s_and_saveexec_b64 s[6:7], s[0:1]
	s_cbranch_execz .LBB0_7
; %bb.6:
	ds_read_b64 v[66:67], v121 offset:3744
	ds_read_b64 v[68:69], v121 offset:7800
	;; [unrolled: 1-line block ×3, first 2 shown]
.LBB0_7:
	s_or_b64 exec, exec, s[6:7]
	s_movk_i32 s6, 0xa5
	v_mul_lo_u16_sdwa v20, v122, s6 dst_sel:DWORD dst_unused:UNUSED_PAD src0_sel:BYTE_0 src1_sel:DWORD
	v_sub_u16_sdwa v21, v122, v20 dst_sel:DWORD dst_unused:UNUSED_PAD src0_sel:DWORD src1_sel:BYTE_1
	v_lshrrev_b16_e32 v21, 1, v21
	v_and_b32_e32 v21, 0x7f, v21
	v_add_u16_sdwa v20, v21, v20 dst_sel:DWORD dst_unused:UNUSED_PAD src0_sel:DWORD src1_sel:BYTE_1
	v_lshrrev_b16_e32 v20, 5, v20
	v_and_b32_e32 v76, 7, v20
	v_mul_lo_u16_e32 v20, 39, v76
	v_sub_u16_e32 v20, v122, v20
	v_mul_lo_u16_sdwa v23, v72, s6 dst_sel:DWORD dst_unused:UNUSED_PAD src0_sel:BYTE_0 src1_sel:DWORD
	s_mov_b32 s6, 0xa41b
	v_and_b32_e32 v77, 0xff, v20
	v_mul_u32_u24_sdwa v20, v73, s6 dst_sel:DWORD dst_unused:UNUSED_PAD src0_sel:WORD_0 src1_sel:DWORD
	v_sub_u16_sdwa v21, v73, v20 dst_sel:DWORD dst_unused:UNUSED_PAD src0_sel:DWORD src1_sel:WORD_1
	v_lshrrev_b16_e32 v21, 1, v21
	v_add_u16_sdwa v20, v21, v20 dst_sel:DWORD dst_unused:UNUSED_PAD src0_sel:DWORD src1_sel:WORD_1
	v_lshrrev_b16_e32 v78, 5, v20
	v_mul_lo_u16_e32 v20, 39, v78
	v_sub_u16_e32 v73, v73, v20
	v_lshlrev_b16_e32 v20, 4, v73
	v_mov_b32_e32 v79, s15
	v_add_co_u32_e32 v20, vcc, s14, v20
	v_addc_co_u32_e32 v21, vcc, 0, v79, vcc
	global_load_dwordx4 v[24:27], v[20:21], off offset:208
	v_mul_u32_u24_sdwa v20, v75, s6 dst_sel:DWORD dst_unused:UNUSED_PAD src0_sel:WORD_0 src1_sel:DWORD
	v_sub_u16_sdwa v21, v75, v20 dst_sel:DWORD dst_unused:UNUSED_PAD src0_sel:DWORD src1_sel:WORD_1
	v_lshrrev_b16_e32 v21, 1, v21
	v_add_u16_sdwa v20, v21, v20 dst_sel:DWORD dst_unused:UNUSED_PAD src0_sel:DWORD src1_sel:WORD_1
	v_lshrrev_b16_e32 v80, 5, v20
	v_mul_lo_u16_e32 v20, 39, v80
	v_sub_u16_e32 v75, v75, v20
	v_lshlrev_b16_e32 v20, 4, v75
	v_add_co_u32_e32 v20, vcc, s14, v20
	v_addc_co_u32_e32 v21, vcc, 0, v79, vcc
	global_load_dwordx4 v[28:31], v[20:21], off offset:208
	v_sub_u16_sdwa v20, v72, v23 dst_sel:DWORD dst_unused:UNUSED_PAD src0_sel:DWORD src1_sel:BYTE_1
	v_lshrrev_b16_e32 v20, 1, v20
	v_and_b32_e32 v20, 0x7f, v20
	v_add_u16_sdwa v20, v20, v23 dst_sel:DWORD dst_unused:UNUSED_PAD src0_sel:DWORD src1_sel:BYTE_1
	v_lshrrev_b16_e32 v20, 5, v20
	v_and_b32_e32 v81, 7, v20
	v_lshlrev_b32_e32 v22, 4, v77
	v_mul_lo_u16_e32 v20, 39, v81
	global_load_dwordx4 v[36:39], v22, s[14:15] offset:208
	v_sub_u16_e32 v20, v72, v20
	v_and_b32_e32 v72, 0xff, v20
	v_lshlrev_b32_e32 v20, 4, v72
	global_load_dwordx4 v[32:35], v20, s[14:15] offset:208
	v_mul_u32_u24_e32 v20, 0xa41b, v74
	v_sub_u16_sdwa v21, v74, v20 dst_sel:DWORD dst_unused:UNUSED_PAD src0_sel:DWORD src1_sel:WORD_1
	v_lshrrev_b16_e32 v21, 1, v21
	v_add_u16_sdwa v20, v21, v20 dst_sel:DWORD dst_unused:UNUSED_PAD src0_sel:DWORD src1_sel:WORD_1
	v_lshrrev_b16_e32 v20, 5, v20
	v_mul_lo_u16_e32 v20, 39, v20
	v_sub_u16_e32 v74, v74, v20
	v_lshlrev_b16_e32 v20, 4, v74
	v_add_co_u32_e32 v20, vcc, s14, v20
	v_addc_co_u32_e32 v21, vcc, 0, v79, vcc
	global_load_dwordx4 v[20:23], v[20:21], off offset:208
	s_movk_i32 s6, 0x75
	v_mul_u32_u24_sdwa v76, v76, s6 dst_sel:DWORD dst_unused:UNUSED_PAD src0_sel:WORD_0 src1_sel:DWORD
	v_add_lshl_u32 v130, v76, v77, 3
	s_waitcnt vmcnt(0) lgkmcnt(0)
	s_barrier
	v_lshlrev_b32_e32 v129, 3, v74
	v_mul_f32_e32 v79, v61, v25
	v_mul_f32_e32 v83, v57, v27
	;; [unrolled: 1-line block ×4, first 2 shown]
	v_fma_f32 v79, v60, v24, -v79
	v_fma_f32 v83, v56, v26, -v83
	v_fmac_f32_e32 v82, v61, v24
	v_fmac_f32_e32 v84, v57, v26
	v_mul_f32_e32 v85, v63, v29
	v_mul_f32_e32 v86, v62, v29
	v_fma_f32 v85, v62, v28, -v85
	v_fmac_f32_e32 v86, v63, v28
	v_mul_f32_e32 v117, v58, v31
	v_fmac_f32_e32 v117, v59, v30
	v_mul_f32_e32 v56, v49, v37
	v_mul_f32_e32 v60, v53, v39
	;; [unrolled: 1-line block ×3, first 2 shown]
	v_fma_f32 v56, v48, v36, -v56
	v_fma_f32 v60, v52, v38, -v60
	v_mul_f32_e32 v57, v48, v37
	v_fmac_f32_e32 v61, v53, v38
	v_add_f32_e32 v53, v56, v60
	v_mul_f32_e32 v87, v55, v35
	v_mul_f32_e32 v115, v54, v35
	v_fmac_f32_e32 v57, v49, v36
	v_add_f32_e32 v52, v44, v56
	v_fma_f32 v44, -0.5, v53, v44
	v_mul_f32_e32 v62, v51, v33
	v_fma_f32 v87, v54, v34, -v87
	v_fmac_f32_e32 v115, v55, v34
	v_sub_f32_e32 v53, v57, v61
	v_mov_b32_e32 v54, v44
	v_add_f32_e32 v55, v57, v61
	v_fma_f32 v62, v50, v32, -v62
	v_fmac_f32_e32 v54, 0x3f5db3d7, v53
	v_fmac_f32_e32 v44, 0xbf5db3d7, v53
	v_add_f32_e32 v53, v45, v57
	v_fma_f32 v45, -0.5, v55, v45
	v_mul_f32_e32 v63, v50, v33
	v_sub_f32_e32 v56, v56, v60
	v_mov_b32_e32 v55, v45
	v_add_f32_e32 v57, v62, v87
	v_fmac_f32_e32 v63, v51, v32
	v_mul_f32_e32 v48, v59, v31
	v_fmac_f32_e32 v55, 0xbf5db3d7, v56
	v_fmac_f32_e32 v45, 0x3f5db3d7, v56
	v_add_f32_e32 v56, v46, v62
	v_fma_f32 v46, -0.5, v57, v46
	v_fma_f32 v116, v58, v30, -v48
	v_sub_f32_e32 v57, v63, v115
	v_mov_b32_e32 v58, v46
	v_add_f32_e32 v59, v63, v115
	v_fmac_f32_e32 v58, 0x3f5db3d7, v57
	v_fmac_f32_e32 v46, 0xbf5db3d7, v57
	v_add_f32_e32 v57, v47, v63
	v_fmac_f32_e32 v47, -0.5, v59
	v_add_f32_e32 v52, v52, v60
	v_add_f32_e32 v53, v53, v61
	v_sub_f32_e32 v60, v62, v87
	v_mov_b32_e32 v59, v47
	v_add_f32_e32 v61, v79, v83
	v_fmac_f32_e32 v59, 0xbf5db3d7, v60
	v_fmac_f32_e32 v47, 0x3f5db3d7, v60
	v_add_f32_e32 v60, v40, v79
	v_fma_f32 v40, -0.5, v61, v40
	v_sub_f32_e32 v61, v82, v84
	v_mov_b32_e32 v62, v40
	v_add_f32_e32 v63, v82, v84
	v_mul_f32_e32 v50, v65, v23
	v_mul_f32_e32 v51, v64, v23
	v_fmac_f32_e32 v62, 0x3f5db3d7, v61
	v_fmac_f32_e32 v40, 0xbf5db3d7, v61
	v_add_f32_e32 v61, v41, v82
	v_fma_f32 v41, -0.5, v63, v41
	v_fma_f32 v50, v64, v22, -v50
	v_fmac_f32_e32 v51, v65, v22
	v_sub_f32_e32 v64, v79, v83
	v_mov_b32_e32 v63, v41
	v_add_f32_e32 v65, v85, v116
	v_mul_f32_e32 v48, v69, v21
	v_mul_f32_e32 v49, v68, v21
	v_fmac_f32_e32 v63, 0xbf5db3d7, v64
	v_fmac_f32_e32 v41, 0x3f5db3d7, v64
	v_add_f32_e32 v64, v42, v85
	v_fma_f32 v42, -0.5, v65, v42
	v_fma_f32 v48, v68, v20, -v48
	v_fmac_f32_e32 v49, v69, v20
	v_sub_f32_e32 v65, v86, v117
	v_mov_b32_e32 v68, v42
	v_add_f32_e32 v69, v86, v117
	v_fmac_f32_e32 v68, 0x3f5db3d7, v65
	v_fmac_f32_e32 v42, 0xbf5db3d7, v65
	v_add_f32_e32 v65, v43, v86
	v_fmac_f32_e32 v43, -0.5, v69
	v_sub_f32_e32 v79, v85, v116
	v_mov_b32_e32 v69, v43
	v_fmac_f32_e32 v69, 0xbf5db3d7, v79
	v_fmac_f32_e32 v43, 0x3f5db3d7, v79
	v_add_f32_e32 v79, v48, v50
	v_add_f32_e32 v57, v57, v115
	v_fma_f32 v115, -0.5, v79, v66
	v_add_f32_e32 v65, v65, v117
	v_sub_f32_e32 v79, v49, v51
	v_mov_b32_e32 v117, v115
	ds_write2_b64 v130, v[52:53], v[54:55] offset1:39
	ds_write_b64 v130, v[44:45] offset:624
	v_mul_u32_u24_sdwa v44, v81, s6 dst_sel:DWORD dst_unused:UNUSED_PAD src0_sel:WORD_0 src1_sel:DWORD
	v_fmac_f32_e32 v117, 0x3f5db3d7, v79
	v_fmac_f32_e32 v115, 0xbf5db3d7, v79
	v_add_f32_e32 v79, v49, v51
	v_add_lshl_u32 v131, v44, v72, 3
	v_mad_legacy_u16 v44, v78, s6, v73
	v_add_f32_e32 v56, v56, v87
	v_add_f32_e32 v60, v60, v83
	;; [unrolled: 1-line block ×4, first 2 shown]
	v_fma_f32 v116, -0.5, v79, v67
	v_lshlrev_b32_e32 v132, 3, v44
	v_sub_f32_e32 v79, v48, v50
	v_mov_b32_e32 v118, v116
	ds_write2_b64 v131, v[56:57], v[58:59] offset1:39
	ds_write_b64 v131, v[46:47] offset:624
	ds_write2_b64 v132, v[60:61], v[62:63] offset1:39
	ds_write_b64 v132, v[40:41] offset:624
	v_mad_legacy_u16 v40, v80, s6, v75
	v_fmac_f32_e32 v118, 0xbf5db3d7, v79
	v_fmac_f32_e32 v116, 0x3f5db3d7, v79
	v_lshlrev_b32_e32 v133, 3, v40
	ds_write2_b64 v133, v[64:65], v[68:69] offset1:39
	ds_write_b64 v133, v[42:43] offset:624
	s_and_saveexec_b64 s[6:7], s[0:1]
	s_cbranch_execz .LBB0_9
; %bb.8:
	v_add_f32_e32 v40, v67, v49
	v_add_f32_e32 v41, v40, v51
	;; [unrolled: 1-line block ×4, first 2 shown]
	v_add_u32_e32 v42, 0x2800, v129
	ds_write2_b64 v42, v[40:41], v[117:118] offset0:124 offset1:163
	ds_write_b64 v129, v[115:116] offset:11856
.LBB0_9:
	s_or_b64 exec, exec, s[6:7]
	v_mov_b32_e32 v41, s15
	s_movk_i32 s6, 0x60
	v_mov_b32_e32 v40, s14
	v_mad_u64_u32 v[64:65], s[6:7], v122, s6, v[40:41]
	s_waitcnt lgkmcnt(0)
	s_barrier
	global_load_dwordx4 v[56:59], v[64:65], off offset:832
	global_load_dwordx4 v[48:51], v[64:65], off offset:848
	;; [unrolled: 1-line block ×6, first 2 shown]
	ds_read2_b64 v[74:77], v121 offset1:117
	ds_read_b64 v[68:69], v121 offset:11232
	v_add_u32_e32 v64, 0x400, v121
	v_add_u32_e32 v66, 0xc00, v121
	;; [unrolled: 1-line block ×5, first 2 shown]
	ds_read2_b64 v[78:81], v64 offset0:106 offset1:223
	ds_read2_b64 v[82:85], v66 offset0:84 offset1:201
	;; [unrolled: 1-line block ×5, first 2 shown]
	v_mov_b32_e32 v67, s13
	v_addc_co_u32_e64 v67, vcc, 0, v67, s[2:3]
	s_mov_b32 s6, 0x3f62ad3f
	s_mov_b32 s3, 0x3f116cb1
	;; [unrolled: 1-line block ×5, first 2 shown]
	s_movk_i32 s15, 0x2000
	s_movk_i32 s14, 0x2f88
	s_waitcnt vmcnt(5) lgkmcnt(6)
	v_mul_f32_e32 v87, v76, v57
	v_mul_f32_e32 v86, v77, v57
	s_waitcnt lgkmcnt(4)
	v_mul_f32_e32 v120, v78, v59
	v_fmac_f32_e32 v87, v77, v56
	v_mul_f32_e32 v119, v79, v59
	s_waitcnt vmcnt(0)
	v_mul_f32_e32 v165, v68, v55
	v_mul_f32_e32 v147, v80, v49
	v_mul_f32_e32 v164, v69, v55
	v_fma_f32 v76, v76, v56, -v86
	v_fmac_f32_e32 v120, v79, v58
	v_fmac_f32_e32 v165, v69, v54
	v_add_f32_e32 v69, v75, v87
	v_mul_f32_e32 v146, v81, v49
	s_waitcnt lgkmcnt(3)
	v_mul_f32_e32 v149, v82, v51
	v_fma_f32 v77, v78, v58, -v119
	v_fmac_f32_e32 v147, v81, v48
	v_fma_f32 v119, v68, v54, -v164
	v_add_f32_e32 v68, v74, v76
	v_add_f32_e32 v69, v69, v120
	v_mul_f32_e32 v148, v83, v51
	v_mul_f32_e32 v151, v84, v45
	v_fma_f32 v78, v80, v48, -v146
	v_fmac_f32_e32 v149, v83, v50
	v_add_f32_e32 v68, v68, v77
	v_add_f32_e32 v69, v69, v147
	v_mul_f32_e32 v150, v85, v45
	s_waitcnt lgkmcnt(2)
	v_mul_f32_e32 v153, v134, v47
	v_fma_f32 v79, v82, v50, -v148
	v_fmac_f32_e32 v151, v85, v44
	v_add_f32_e32 v68, v68, v78
	v_add_f32_e32 v69, v69, v149
	v_mul_f32_e32 v152, v135, v47
	v_mul_f32_e32 v155, v136, v41
	v_fma_f32 v80, v84, v44, -v150
	v_fmac_f32_e32 v153, v135, v46
	v_add_f32_e32 v68, v68, v79
	v_add_f32_e32 v69, v69, v151
	v_mul_f32_e32 v154, v137, v41
	s_waitcnt lgkmcnt(1)
	v_mul_f32_e32 v157, v138, v43
	v_fma_f32 v81, v134, v46, -v152
	v_fmac_f32_e32 v155, v137, v40
	v_add_f32_e32 v68, v68, v80
	v_add_f32_e32 v69, v69, v153
	v_mul_f32_e32 v156, v139, v43
	v_mul_f32_e32 v159, v140, v61
	v_fma_f32 v82, v136, v40, -v154
	v_fmac_f32_e32 v157, v139, v42
	v_add_f32_e32 v68, v68, v81
	v_add_f32_e32 v69, v69, v155
	v_mul_f32_e32 v158, v141, v61
	s_waitcnt lgkmcnt(0)
	v_mul_f32_e32 v161, v142, v63
	v_fma_f32 v83, v138, v42, -v156
	v_fmac_f32_e32 v159, v141, v60
	v_add_f32_e32 v68, v68, v82
	v_add_f32_e32 v69, v69, v157
	v_mul_f32_e32 v160, v143, v63
	v_mul_f32_e32 v163, v144, v53
	v_fma_f32 v84, v140, v60, -v158
	v_fmac_f32_e32 v161, v143, v62
	v_add_f32_e32 v68, v68, v83
	v_add_f32_e32 v69, v69, v159
	v_mul_f32_e32 v162, v145, v53
	v_fma_f32 v85, v142, v62, -v160
	v_fmac_f32_e32 v163, v145, v52
	v_add_f32_e32 v68, v68, v84
	v_add_f32_e32 v69, v69, v161
	;; [unrolled: 1-line block ×3, first 2 shown]
	v_sub_f32_e32 v76, v76, v119
	v_fma_f32 v86, v144, v52, -v162
	v_add_f32_e32 v68, v68, v85
	v_add_f32_e32 v69, v69, v163
	v_mul_f32_e32 v137, 0xbeedf032, v76
	v_mul_f32_e32 v141, 0xbf52af12, v76
	;; [unrolled: 1-line block ×6, first 2 shown]
	v_add_f32_e32 v68, v68, v86
	v_add_f32_e32 v69, v69, v165
	;; [unrolled: 1-line block ×3, first 2 shown]
	v_sub_f32_e32 v87, v87, v165
	v_mov_b32_e32 v138, v137
	v_mov_b32_e32 v142, v141
	v_mov_b32_e32 v146, v145
	v_mov_b32_e32 v154, v152
	v_mov_b32_e32 v162, v160
	v_mov_b32_e32 v165, v76
	v_add_f32_e32 v68, v68, v119
	v_mul_f32_e32 v119, 0xbeedf032, v87
	v_fmac_f32_e32 v138, 0x3f62ad3f, v135
	v_fma_f32 v137, v135, s6, -v137
	v_mul_f32_e32 v139, 0xbf52af12, v87
	v_fmac_f32_e32 v142, 0x3f116cb1, v135
	v_fma_f32 v141, v135, s3, -v141
	;; [unrolled: 3-line block ×6, first 2 shown]
	v_fma_f32 v136, v134, s6, -v119
	v_add_f32_e32 v138, v75, v138
	v_fmac_f32_e32 v119, 0x3f62ad3f, v134
	v_add_f32_e32 v137, v75, v137
	v_fma_f32 v140, v134, s3, -v139
	v_add_f32_e32 v142, v75, v142
	v_fmac_f32_e32 v139, 0x3f116cb1, v134
	v_add_f32_e32 v141, v75, v141
	;; [unrolled: 4-line block ×6, first 2 shown]
	v_add_f32_e32 v76, v77, v86
	v_sub_f32_e32 v77, v77, v86
	v_sub_f32_e32 v86, v120, v163
	v_add_f32_e32 v136, v74, v136
	v_add_f32_e32 v119, v74, v119
	;; [unrolled: 1-line block ×13, first 2 shown]
	v_mul_f32_e32 v120, 0xbf52af12, v86
	v_fma_f32 v134, v76, s3, -v120
	v_mul_f32_e32 v135, 0xbf52af12, v77
	v_add_f32_e32 v134, v134, v136
	v_mov_b32_e32 v136, v135
	v_fmac_f32_e32 v120, 0x3f116cb1, v76
	v_fmac_f32_e32 v136, 0x3f116cb1, v87
	v_add_f32_e32 v119, v120, v119
	v_fma_f32 v120, v87, s3, -v135
	v_mul_f32_e32 v135, 0xbf6f5d39, v86
	v_add_f32_e32 v136, v136, v138
	v_add_f32_e32 v120, v120, v137
	v_fma_f32 v137, v76, s7, -v135
	v_mul_f32_e32 v138, 0xbf6f5d39, v77
	v_add_f32_e32 v137, v137, v140
	v_mov_b32_e32 v140, v138
	v_fmac_f32_e32 v135, 0xbeb58ec6, v76
	v_fmac_f32_e32 v140, 0xbeb58ec6, v87
	v_add_f32_e32 v135, v135, v139
	v_fma_f32 v138, v87, s7, -v138
	v_mul_f32_e32 v139, 0xbe750f2a, v86
	v_add_f32_e32 v140, v140, v142
	v_add_f32_e32 v138, v138, v141
	;; [unrolled: 11-line block ×4, first 2 shown]
	v_fma_f32 v152, v76, s2, -v148
	v_mul_f32_e32 v154, 0x3f7e222b, v77
	v_fmac_f32_e32 v148, 0x3df6dbef, v76
	v_mul_f32_e32 v86, 0x3eedf032, v86
	v_mul_f32_e32 v77, 0x3eedf032, v77
	v_add_f32_e32 v148, v148, v156
	v_fma_f32 v156, v76, s6, -v86
	v_fmac_f32_e32 v86, 0x3f62ad3f, v76
	v_fma_f32 v76, v87, s6, -v77
	v_add_f32_e32 v152, v152, v158
	v_mov_b32_e32 v158, v154
	v_fma_f32 v154, v87, s2, -v154
	v_add_f32_e32 v75, v76, v75
	v_add_f32_e32 v76, v78, v85
	v_sub_f32_e32 v78, v78, v85
	v_sub_f32_e32 v85, v147, v161
	v_add_f32_e32 v154, v154, v160
	v_mov_b32_e32 v160, v77
	v_add_f32_e32 v74, v86, v74
	v_mul_f32_e32 v86, 0xbf7e222b, v85
	v_fmac_f32_e32 v158, 0x3df6dbef, v87
	v_fmac_f32_e32 v160, 0x3f62ad3f, v87
	v_fma_f32 v87, v76, s2, -v86
	v_add_f32_e32 v77, v147, v161
	v_add_f32_e32 v87, v87, v134
	v_mul_f32_e32 v134, 0xbf7e222b, v78
	v_fmac_f32_e32 v86, 0x3df6dbef, v76
	v_add_f32_e32 v86, v86, v119
	v_fma_f32 v119, v77, s2, -v134
	v_add_f32_e32 v119, v119, v120
	v_mul_f32_e32 v120, 0xbe750f2a, v85
	v_mov_b32_e32 v147, v134
	v_fma_f32 v134, v76, s13, -v120
	v_fmac_f32_e32 v147, 0x3df6dbef, v77
	v_add_f32_e32 v134, v134, v137
	v_mul_f32_e32 v137, 0xbe750f2a, v78
	v_fmac_f32_e32 v120, 0xbf788fa5, v76
	v_add_f32_e32 v136, v147, v136
	v_mov_b32_e32 v147, v137
	v_add_f32_e32 v120, v120, v135
	v_fma_f32 v135, v77, s13, -v137
	v_mul_f32_e32 v137, 0x3f6f5d39, v85
	v_add_f32_e32 v135, v135, v138
	v_fma_f32 v138, v76, s7, -v137
	v_fmac_f32_e32 v147, 0xbf788fa5, v77
	v_add_f32_e32 v138, v138, v141
	v_mul_f32_e32 v141, 0x3f6f5d39, v78
	v_fmac_f32_e32 v137, 0xbeb58ec6, v76
	v_add_f32_e32 v140, v147, v140
	v_mov_b32_e32 v147, v141
	v_add_f32_e32 v137, v137, v139
	v_fma_f32 v139, v77, s7, -v141
	v_mul_f32_e32 v141, 0x3eedf032, v85
	v_add_f32_e32 v139, v139, v142
	v_fma_f32 v142, v76, s6, -v141
	v_fmac_f32_e32 v147, 0xbeb58ec6, v77
	v_add_f32_e32 v142, v142, v145
	v_mul_f32_e32 v145, 0x3eedf032, v78
	v_add_f32_e32 v144, v147, v144
	v_mov_b32_e32 v147, v145
	v_fmac_f32_e32 v141, 0x3f62ad3f, v76
	v_fmac_f32_e32 v147, 0x3f62ad3f, v77
	v_add_f32_e32 v141, v141, v143
	v_fma_f32 v143, v77, s6, -v145
	v_mul_f32_e32 v145, 0xbf52af12, v85
	v_add_f32_e32 v147, v147, v150
	v_add_f32_e32 v143, v143, v146
	v_fma_f32 v146, v76, s3, -v145
	v_mul_f32_e32 v150, 0xbf52af12, v78
	v_fmac_f32_e32 v145, 0x3f116cb1, v76
	v_mul_f32_e32 v85, 0xbf29c268, v85
	v_mul_f32_e32 v78, 0xbf29c268, v78
	v_add_f32_e32 v146, v146, v152
	v_mov_b32_e32 v152, v150
	v_add_f32_e32 v145, v145, v148
	v_fma_f32 v148, v77, s3, -v150
	v_fma_f32 v150, v76, s12, -v85
	v_fmac_f32_e32 v85, 0xbf3f9e67, v76
	v_fma_f32 v76, v77, s12, -v78
	v_add_f32_e32 v148, v148, v154
	v_mov_b32_e32 v154, v78
	v_add_f32_e32 v75, v76, v75
	v_add_f32_e32 v76, v79, v84
	v_sub_f32_e32 v78, v79, v84
	v_sub_f32_e32 v79, v149, v159
	v_mul_f32_e32 v84, 0xbf6f5d39, v79
	v_add_f32_e32 v74, v85, v74
	v_fma_f32 v85, v76, s7, -v84
	v_fmac_f32_e32 v152, 0x3f116cb1, v77
	v_fmac_f32_e32 v154, 0xbf3f9e67, v77
	v_add_f32_e32 v77, v149, v159
	v_add_f32_e32 v85, v85, v87
	v_mul_f32_e32 v87, 0xbf6f5d39, v78
	v_fmac_f32_e32 v84, 0xbeb58ec6, v76
	v_mov_b32_e32 v149, v87
	v_add_f32_e32 v84, v84, v86
	v_fma_f32 v86, v77, s7, -v87
	v_mul_f32_e32 v87, 0x3f29c268, v79
	v_add_f32_e32 v86, v86, v119
	v_fma_f32 v119, v76, s12, -v87
	v_fmac_f32_e32 v149, 0xbeb58ec6, v77
	v_add_f32_e32 v119, v119, v134
	v_mul_f32_e32 v134, 0x3f29c268, v78
	v_fmac_f32_e32 v87, 0xbf3f9e67, v76
	v_add_f32_e32 v136, v149, v136
	v_mov_b32_e32 v149, v134
	v_add_f32_e32 v87, v87, v120
	v_fma_f32 v120, v77, s12, -v134
	v_mul_f32_e32 v134, 0x3eedf032, v79
	v_add_f32_e32 v120, v120, v135
	v_fma_f32 v135, v76, s6, -v134
	v_fmac_f32_e32 v149, 0xbf3f9e67, v77
	v_add_f32_e32 v135, v135, v138
	v_mul_f32_e32 v138, 0x3eedf032, v78
	v_fmac_f32_e32 v134, 0x3f62ad3f, v76
	v_add_f32_e32 v140, v149, v140
	;; [unrolled: 11-line block ×3, first 2 shown]
	v_mov_b32_e32 v149, v142
	v_add_f32_e32 v138, v138, v141
	v_fma_f32 v141, v77, s2, -v142
	v_mul_f32_e32 v142, 0x3e750f2a, v79
	v_add_f32_e32 v141, v141, v143
	v_fma_f32 v143, v76, s13, -v142
	v_fmac_f32_e32 v149, 0x3df6dbef, v77
	v_add_f32_e32 v143, v143, v146
	v_mul_f32_e32 v146, 0x3e750f2a, v78
	v_fmac_f32_e32 v142, 0xbf788fa5, v76
	v_mul_f32_e32 v79, 0x3f52af12, v79
	v_add_f32_e32 v147, v149, v147
	v_mov_b32_e32 v149, v146
	v_add_f32_e32 v142, v142, v145
	v_fma_f32 v145, v77, s13, -v146
	v_fma_f32 v146, v76, s3, -v79
	v_mul_f32_e32 v78, 0x3f52af12, v78
	v_fmac_f32_e32 v79, 0x3f116cb1, v76
	v_add_f32_e32 v74, v79, v74
	v_fma_f32 v76, v77, s3, -v78
	v_sub_f32_e32 v79, v151, v157
	v_add_f32_e32 v145, v145, v148
	v_mov_b32_e32 v148, v78
	v_add_f32_e32 v75, v76, v75
	v_add_f32_e32 v76, v80, v83
	v_sub_f32_e32 v78, v80, v83
	v_mul_f32_e32 v80, 0xbf29c268, v79
	v_add_f32_e32 v156, v156, v164
	v_fma_f32 v83, v76, s12, -v80
	v_add_f32_e32 v150, v150, v156
	v_fmac_f32_e32 v149, 0xbf788fa5, v77
	v_fmac_f32_e32 v148, 0x3f116cb1, v77
	v_add_f32_e32 v77, v151, v157
	v_add_f32_e32 v83, v83, v85
	v_mul_f32_e32 v85, 0xbf29c268, v78
	v_fmac_f32_e32 v80, 0xbf3f9e67, v76
	v_add_f32_e32 v146, v146, v150
	v_mov_b32_e32 v150, v85
	v_add_f32_e32 v80, v80, v84
	v_fma_f32 v84, v77, s12, -v85
	v_mul_f32_e32 v85, 0x3f7e222b, v79
	v_add_f32_e32 v84, v84, v86
	v_fma_f32 v86, v76, s2, -v85
	v_fmac_f32_e32 v150, 0xbf3f9e67, v77
	v_add_f32_e32 v86, v86, v119
	v_mul_f32_e32 v119, 0x3f7e222b, v78
	v_fmac_f32_e32 v85, 0x3df6dbef, v76
	v_add_f32_e32 v136, v150, v136
	v_mov_b32_e32 v150, v119
	v_add_f32_e32 v85, v85, v87
	v_fma_f32 v87, v77, s2, -v119
	v_mul_f32_e32 v119, 0xbf52af12, v79
	v_add_f32_e32 v87, v87, v120
	v_fma_f32 v120, v76, s3, -v119
	v_fmac_f32_e32 v150, 0x3df6dbef, v77
	;; [unrolled: 11-line block ×3, first 2 shown]
	v_add_f32_e32 v137, v137, v139
	v_mul_f32_e32 v139, 0x3e750f2a, v78
	v_fmac_f32_e32 v135, 0xbf788fa5, v76
	v_add_f32_e32 v144, v150, v144
	v_mov_b32_e32 v150, v139
	v_add_f32_e32 v135, v135, v138
	v_fma_f32 v138, v77, s13, -v139
	v_mul_f32_e32 v139, 0x3eedf032, v79
	v_add_f32_e32 v138, v138, v141
	v_fma_f32 v141, v76, s6, -v139
	v_add_f32_e32 v158, v158, v162
	v_fmac_f32_e32 v150, 0xbf788fa5, v77
	v_add_f32_e32 v141, v141, v143
	v_mul_f32_e32 v143, 0x3eedf032, v78
	v_fmac_f32_e32 v139, 0x3f62ad3f, v76
	v_add_f32_e32 v160, v160, v165
	v_add_f32_e32 v152, v152, v158
	;; [unrolled: 1-line block ×3, first 2 shown]
	v_mov_b32_e32 v150, v143
	v_add_f32_e32 v139, v139, v142
	v_fma_f32 v142, v77, s6, -v143
	v_mul_f32_e32 v79, 0xbf6f5d39, v79
	v_mul_f32_e32 v78, 0xbf6f5d39, v78
	v_add_f32_e32 v154, v154, v160
	v_add_f32_e32 v149, v149, v152
	v_fmac_f32_e32 v150, 0x3f62ad3f, v77
	v_add_f32_e32 v142, v142, v145
	v_fma_f32 v143, v76, s7, -v79
	v_mov_b32_e32 v145, v78
	v_fmac_f32_e32 v79, 0xbeb58ec6, v76
	v_add_f32_e32 v151, v153, v155
	v_sub_f32_e32 v153, v153, v155
	v_add_f32_e32 v148, v148, v154
	v_add_f32_e32 v149, v150, v149
	;; [unrolled: 1-line block ×3, first 2 shown]
	v_fmac_f32_e32 v145, 0xbeb58ec6, v77
	v_add_f32_e32 v146, v79, v74
	v_fma_f32 v74, v77, s7, -v78
	v_add_f32_e32 v150, v81, v82
	v_sub_f32_e32 v152, v81, v82
	v_mul_f32_e32 v76, 0xbe750f2a, v153
	v_add_f32_e32 v145, v145, v148
	v_add_f32_e32 v148, v74, v75
	v_fma_f32 v74, v150, s13, -v76
	v_mul_f32_e32 v77, 0xbe750f2a, v152
	v_fmac_f32_e32 v76, 0xbf788fa5, v150
	v_mov_b32_e32 v75, v77
	v_add_f32_e32 v76, v76, v80
	v_fma_f32 v77, v151, s13, -v77
	v_mul_f32_e32 v80, 0x3eedf032, v153
	v_add_f32_e32 v77, v77, v84
	v_fma_f32 v78, v150, s6, -v80
	v_fmac_f32_e32 v80, 0x3f62ad3f, v150
	v_mul_f32_e32 v84, 0xbf29c268, v153
	v_fmac_f32_e32 v75, 0xbf788fa5, v151
	v_add_f32_e32 v80, v80, v85
	v_fma_f32 v82, v150, s12, -v84
	v_mul_f32_e32 v85, 0xbf29c268, v152
	v_fmac_f32_e32 v84, 0xbf3f9e67, v150
	v_add_f32_e32 v74, v74, v83
	v_add_f32_e32 v75, v75, v136
	v_mul_f32_e32 v81, 0x3eedf032, v152
	v_mov_b32_e32 v83, v85
	v_add_f32_e32 v84, v84, v119
	v_fma_f32 v85, v151, s12, -v85
	v_mul_f32_e32 v119, 0x3f52af12, v153
	v_mul_f32_e32 v136, 0xbf6f5d39, v153
	v_add_f32_e32 v78, v78, v86
	v_mov_b32_e32 v79, v81
	v_add_f32_e32 v85, v85, v134
	v_fma_f32 v86, v150, s3, -v119
	v_fma_f32 v134, v150, s7, -v136
	v_fmac_f32_e32 v79, 0x3f62ad3f, v151
	v_fma_f32 v81, v151, s6, -v81
	v_add_f32_e32 v82, v82, v120
	v_add_f32_e32 v86, v86, v137
	v_mul_f32_e32 v120, 0x3f52af12, v152
	v_fmac_f32_e32 v119, 0x3f116cb1, v150
	v_add_f32_e32 v134, v134, v141
	v_mul_f32_e32 v137, 0xbf6f5d39, v152
	v_fmac_f32_e32 v136, 0xbeb58ec6, v150
	v_mul_f32_e32 v141, 0x3f7e222b, v152
	v_add_f32_e32 v79, v79, v140
	v_add_f32_e32 v81, v81, v87
	v_mov_b32_e32 v87, v120
	v_add_f32_e32 v119, v119, v135
	v_fma_f32 v120, v151, s3, -v120
	v_mov_b32_e32 v135, v137
	v_add_f32_e32 v136, v136, v139
	v_mul_f32_e32 v140, 0x3f7e222b, v153
	v_mov_b32_e32 v139, v141
	v_fmac_f32_e32 v83, 0xbf3f9e67, v151
	v_fmac_f32_e32 v87, 0x3f116cb1, v151
	v_add_f32_e32 v120, v120, v138
	v_fmac_f32_e32 v135, 0xbeb58ec6, v151
	v_fma_f32 v137, v151, s7, -v137
	v_fma_f32 v138, v150, s2, -v140
	v_fmac_f32_e32 v139, 0x3df6dbef, v151
	v_fmac_f32_e32 v140, 0x3df6dbef, v150
	v_fma_f32 v141, v151, s2, -v141
	v_add_f32_e32 v83, v83, v144
	v_add_f32_e32 v87, v87, v147
	;; [unrolled: 1-line block ×8, first 2 shown]
	ds_write2_b64 v121, v[68:69], v[74:75] offset1:117
	ds_write2_b64 v64, v[78:79], v[82:83] offset0:106 offset1:223
	ds_write2_b64 v66, v[86:87], v[134:135] offset0:84 offset1:201
	;; [unrolled: 1-line block ×5, first 2 shown]
	ds_write_b64 v121, v[76:77] offset:11232
	v_add_co_u32_e32 v68, vcc, s15, v70
	v_addc_co_u32_e32 v69, vcc, 0, v67, vcc
	s_waitcnt lgkmcnt(0)
	s_barrier
	global_load_dwordx2 v[74:75], v[68:69], off offset:3976
	v_add_co_u32_e32 v68, vcc, s14, v70
	v_addc_co_u32_e32 v69, vcc, 0, v67, vcc
	global_load_dwordx2 v[76:77], v[68:69], off offset:936
	global_load_dwordx2 v[78:79], v[68:69], off offset:1872
	;; [unrolled: 1-line block ×4, first 2 shown]
	s_movk_i32 s14, 0x4000
	v_add_co_u32_e32 v68, vcc, s14, v70
	v_addc_co_u32_e32 v69, vcc, 0, v67, vcc
	global_load_dwordx2 v[84:85], v[68:69], off offset:464
	global_load_dwordx2 v[86:87], v[68:69], off offset:1400
	;; [unrolled: 1-line block ×4, first 2 shown]
	s_movk_i32 s14, 0x5000
	v_add_co_u32_e32 v68, vcc, s14, v70
	v_addc_co_u32_e32 v69, vcc, 0, v67, vcc
	global_load_dwordx2 v[136:137], v[68:69], off offset:112
	global_load_dwordx2 v[138:139], v[68:69], off offset:1048
	global_load_dwordx2 v[140:141], v[68:69], off offset:1984
	global_load_dwordx2 v[142:143], v[68:69], off offset:2920
	ds_read2_b64 v[67:70], v121 offset1:117
	s_waitcnt vmcnt(12) lgkmcnt(0)
	v_mul_f32_e32 v144, v68, v75
	v_mul_f32_e32 v145, v67, v75
	v_fma_f32 v144, v67, v74, -v144
	v_fmac_f32_e32 v145, v68, v74
	s_waitcnt vmcnt(11)
	v_mul_f32_e32 v67, v70, v77
	v_mul_f32_e32 v68, v69, v77
	v_fma_f32 v67, v69, v76, -v67
	v_fmac_f32_e32 v68, v70, v76
	ds_write2_b64 v121, v[144:145], v[67:68] offset1:117
	ds_read2_b64 v[67:70], v64 offset0:106 offset1:223
	s_waitcnt vmcnt(10) lgkmcnt(0)
	v_mul_f32_e32 v74, v68, v79
	v_fma_f32 v144, v67, v78, -v74
	ds_read2_b64 v[74:77], v66 offset0:84 offset1:201
	v_mul_f32_e32 v145, v67, v79
	v_fmac_f32_e32 v145, v68, v78
	s_waitcnt vmcnt(9)
	v_mul_f32_e32 v67, v70, v81
	v_mul_f32_e32 v68, v69, v81
	v_fma_f32 v67, v69, v80, -v67
	v_fmac_f32_e32 v68, v70, v80
	ds_write2_b64 v64, v[144:145], v[67:68] offset0:106 offset1:223
	s_waitcnt vmcnt(8) lgkmcnt(1)
	v_mul_f32_e32 v67, v75, v83
	v_fma_f32 v78, v74, v82, -v67
	ds_read2_b64 v[67:70], v73 offset0:62 offset1:179
	v_mul_f32_e32 v79, v74, v83
	v_fmac_f32_e32 v79, v75, v82
	s_waitcnt vmcnt(7)
	v_mul_f32_e32 v74, v77, v85
	v_mul_f32_e32 v75, v76, v85
	v_fma_f32 v74, v76, v84, -v74
	v_fmac_f32_e32 v75, v77, v84
	ds_write2_b64 v66, v[78:79], v[74:75] offset0:84 offset1:201
	;; [unrolled: 12-line block ×4, first 2 shown]
	s_waitcnt vmcnt(2) lgkmcnt(1)
	v_mul_f32_e32 v74, v68, v139
	v_mul_f32_e32 v75, v67, v139
	v_fma_f32 v74, v67, v138, -v74
	v_fmac_f32_e32 v75, v68, v138
	ds_read_b64 v[67:68], v121 offset:11232
	s_waitcnt vmcnt(1)
	v_mul_f32_e32 v76, v70, v141
	v_mul_f32_e32 v77, v69, v141
	v_fma_f32 v76, v69, v140, -v76
	v_fmac_f32_e32 v77, v70, v140
	s_waitcnt vmcnt(0) lgkmcnt(0)
	v_mul_f32_e32 v69, v68, v143
	v_mul_f32_e32 v70, v67, v143
	v_fma_f32 v69, v67, v142, -v69
	v_fmac_f32_e32 v70, v68, v142
	ds_write2_b64 v72, v[74:75], v[76:77] offset0:18 offset1:135
	ds_write_b64 v121, v[69:70] offset:11232
	s_waitcnt lgkmcnt(0)
	s_barrier
	ds_read2_b64 v[67:70], v121 offset1:117
	ds_read2_b64 v[74:77], v64 offset0:106 offset1:223
	ds_read2_b64 v[78:81], v66 offset0:84 offset1:201
	;; [unrolled: 1-line block ×5, first 2 shown]
	ds_read_b64 v[86:87], v121 offset:11232
	s_waitcnt lgkmcnt(6)
	v_add_f32_e32 v120, v68, v70
	v_add_f32_e32 v119, v67, v69
	s_waitcnt lgkmcnt(5)
	v_add_f32_e32 v120, v120, v75
	v_add_f32_e32 v119, v119, v74
	v_add_f32_e32 v120, v120, v77
	v_add_f32_e32 v119, v119, v76
	s_waitcnt lgkmcnt(4)
	v_add_f32_e32 v120, v120, v79
	v_add_f32_e32 v119, v119, v78
	;; [unrolled: 5-line block ×6, first 2 shown]
	v_sub_f32_e32 v70, v70, v87
	v_add_f32_e32 v142, v119, v86
	v_add_f32_e32 v119, v86, v69
	v_sub_f32_e32 v69, v69, v86
	v_mul_f32_e32 v86, 0xbeedf032, v70
	v_mul_f32_e32 v146, 0xbf52af12, v70
	;; [unrolled: 1-line block ×6, first 2 shown]
	v_mov_b32_e32 v87, v86
	v_mov_b32_e32 v147, v146
	;; [unrolled: 1-line block ×6, first 2 shown]
	v_fmac_f32_e32 v87, 0x3f62ad3f, v119
	v_mul_f32_e32 v144, 0x3f62ad3f, v120
	v_fma_f32 v86, v119, s6, -v86
	v_fmac_f32_e32 v147, 0x3f116cb1, v119
	v_mul_f32_e32 v148, 0x3f116cb1, v120
	v_fma_f32 v146, v119, s3, -v146
	;; [unrolled: 3-line block ×6, first 2 shown]
	v_add_f32_e32 v87, v67, v87
	v_mov_b32_e32 v145, v144
	v_add_f32_e32 v86, v67, v86
	v_add_f32_e32 v147, v67, v147
	v_mov_b32_e32 v149, v148
	v_add_f32_e32 v146, v67, v146
	v_add_f32_e32 v151, v67, v151
	v_mov_b32_e32 v153, v152
	v_add_f32_e32 v150, v67, v150
	v_add_f32_e32 v155, v67, v155
	v_mov_b32_e32 v157, v156
	v_add_f32_e32 v154, v67, v154
	v_add_f32_e32 v159, v67, v159
	v_mov_b32_e32 v161, v160
	v_add_f32_e32 v158, v67, v158
	v_add_f32_e32 v162, v67, v162
	v_mov_b32_e32 v163, v120
	v_add_f32_e32 v67, v67, v70
	v_add_f32_e32 v70, v141, v75
	v_sub_f32_e32 v75, v75, v141
	v_fmac_f32_e32 v145, 0x3eedf032, v69
	v_fmac_f32_e32 v144, 0xbeedf032, v69
	;; [unrolled: 1-line block ×12, first 2 shown]
	v_mul_f32_e32 v119, 0xbf52af12, v75
	v_add_f32_e32 v145, v68, v145
	v_add_f32_e32 v144, v68, v144
	;; [unrolled: 1-line block ×13, first 2 shown]
	v_mov_b32_e32 v120, v119
	v_fmac_f32_e32 v120, 0x3f116cb1, v69
	v_sub_f32_e32 v74, v74, v140
	v_add_f32_e32 v87, v120, v87
	v_mul_f32_e32 v120, 0x3f116cb1, v70
	v_mov_b32_e32 v140, v120
	v_fma_f32 v119, v69, s3, -v119
	v_fmac_f32_e32 v120, 0xbf52af12, v74
	v_add_f32_e32 v86, v119, v86
	v_add_f32_e32 v119, v120, v144
	v_mul_f32_e32 v120, 0xbf6f5d39, v75
	v_mov_b32_e32 v141, v120
	v_fma_f32 v120, v69, s7, -v120
	v_fmac_f32_e32 v140, 0x3f52af12, v74
	v_fmac_f32_e32 v141, 0xbeb58ec6, v69
	v_mul_f32_e32 v144, 0xbeb58ec6, v70
	v_add_f32_e32 v120, v120, v146
	v_mul_f32_e32 v146, 0xbe750f2a, v75
	v_add_f32_e32 v140, v140, v145
	v_add_f32_e32 v141, v141, v147
	v_mov_b32_e32 v145, v144
	v_fmac_f32_e32 v144, 0xbf6f5d39, v74
	v_mov_b32_e32 v147, v146
	v_fma_f32 v146, v69, s13, -v146
	v_fmac_f32_e32 v145, 0x3f6f5d39, v74
	v_add_f32_e32 v144, v144, v148
	v_fmac_f32_e32 v147, 0xbf788fa5, v69
	v_mul_f32_e32 v148, 0xbf788fa5, v70
	v_add_f32_e32 v146, v146, v150
	v_mul_f32_e32 v150, 0x3f29c268, v75
	v_add_f32_e32 v145, v145, v149
	v_add_f32_e32 v147, v147, v151
	v_mov_b32_e32 v149, v148
	v_fmac_f32_e32 v148, 0xbe750f2a, v74
	v_mov_b32_e32 v151, v150
	v_fma_f32 v150, v69, s12, -v150
	v_fmac_f32_e32 v149, 0x3e750f2a, v74
	v_add_f32_e32 v148, v148, v152
	v_fmac_f32_e32 v151, 0xbf3f9e67, v69
	v_mul_f32_e32 v152, 0xbf3f9e67, v70
	v_add_f32_e32 v150, v150, v154
	v_mul_f32_e32 v154, 0x3f7e222b, v75
	v_add_f32_e32 v149, v149, v153
	v_add_f32_e32 v151, v151, v155
	v_mov_b32_e32 v153, v152
	v_fmac_f32_e32 v152, 0x3f29c268, v74
	v_mov_b32_e32 v155, v154
	v_fma_f32 v154, v69, s2, -v154
	v_mul_f32_e32 v75, 0x3eedf032, v75
	v_fmac_f32_e32 v153, 0xbf29c268, v74
	v_add_f32_e32 v152, v152, v156
	v_fmac_f32_e32 v155, 0x3df6dbef, v69
	v_mul_f32_e32 v156, 0x3df6dbef, v70
	v_add_f32_e32 v154, v154, v158
	v_mov_b32_e32 v158, v75
	v_mul_f32_e32 v70, 0x3f62ad3f, v70
	v_add_f32_e32 v153, v153, v157
	v_add_f32_e32 v155, v155, v159
	v_mov_b32_e32 v157, v156
	v_fmac_f32_e32 v158, 0x3f62ad3f, v69
	v_mov_b32_e32 v159, v70
	v_fma_f32 v69, v69, s6, -v75
	v_sub_f32_e32 v75, v77, v139
	v_fmac_f32_e32 v157, 0xbf7e222b, v74
	v_fmac_f32_e32 v156, 0x3f7e222b, v74
	;; [unrolled: 1-line block ×3, first 2 shown]
	v_add_f32_e32 v67, v69, v67
	v_fmac_f32_e32 v70, 0x3eedf032, v74
	v_add_f32_e32 v69, v138, v76
	v_sub_f32_e32 v74, v76, v138
	v_mul_f32_e32 v76, 0xbf7e222b, v75
	v_add_f32_e32 v68, v70, v68
	v_add_f32_e32 v70, v139, v77
	v_mov_b32_e32 v77, v76
	v_fmac_f32_e32 v77, 0x3df6dbef, v69
	v_add_f32_e32 v77, v77, v87
	v_mul_f32_e32 v87, 0x3df6dbef, v70
	v_mov_b32_e32 v138, v87
	v_fma_f32 v76, v69, s2, -v76
	v_fmac_f32_e32 v87, 0xbf7e222b, v74
	v_fmac_f32_e32 v138, 0x3f7e222b, v74
	v_add_f32_e32 v76, v76, v86
	v_add_f32_e32 v86, v87, v119
	v_mul_f32_e32 v87, 0xbe750f2a, v75
	v_mul_f32_e32 v139, 0xbf788fa5, v70
	v_add_f32_e32 v138, v138, v140
	v_mov_b32_e32 v119, v87
	v_mov_b32_e32 v140, v139
	v_fma_f32 v87, v69, s13, -v87
	v_fmac_f32_e32 v139, 0xbe750f2a, v74
	v_fmac_f32_e32 v119, 0xbf788fa5, v69
	v_add_f32_e32 v87, v87, v120
	v_add_f32_e32 v120, v139, v144
	v_mul_f32_e32 v139, 0x3f6f5d39, v75
	v_add_f32_e32 v119, v119, v141
	v_mov_b32_e32 v141, v139
	v_fma_f32 v139, v69, s7, -v139
	v_fmac_f32_e32 v140, 0x3e750f2a, v74
	v_fmac_f32_e32 v141, 0xbeb58ec6, v69
	v_mul_f32_e32 v144, 0xbeb58ec6, v70
	v_add_f32_e32 v139, v139, v146
	v_mul_f32_e32 v146, 0x3eedf032, v75
	v_add_f32_e32 v140, v140, v145
	v_add_f32_e32 v141, v141, v147
	v_mov_b32_e32 v145, v144
	v_fmac_f32_e32 v144, 0x3f6f5d39, v74
	v_mov_b32_e32 v147, v146
	v_fma_f32 v146, v69, s6, -v146
	v_fmac_f32_e32 v145, 0xbf6f5d39, v74
	v_add_f32_e32 v144, v144, v148
	v_fmac_f32_e32 v147, 0x3f62ad3f, v69
	v_mul_f32_e32 v148, 0x3f62ad3f, v70
	v_add_f32_e32 v146, v146, v150
	v_mul_f32_e32 v150, 0xbf52af12, v75
	v_add_f32_e32 v145, v145, v149
	v_add_f32_e32 v147, v147, v151
	v_mov_b32_e32 v149, v148
	v_fmac_f32_e32 v148, 0x3eedf032, v74
	v_mov_b32_e32 v151, v150
	v_fma_f32 v150, v69, s3, -v150
	v_mul_f32_e32 v75, 0xbf29c268, v75
	v_fmac_f32_e32 v149, 0xbeedf032, v74
	v_add_f32_e32 v148, v148, v152
	v_fmac_f32_e32 v151, 0x3f116cb1, v69
	v_mul_f32_e32 v152, 0x3f116cb1, v70
	v_add_f32_e32 v150, v150, v154
	v_mov_b32_e32 v154, v75
	v_mul_f32_e32 v70, 0xbf3f9e67, v70
	v_add_f32_e32 v149, v149, v153
	v_add_f32_e32 v151, v151, v155
	v_mov_b32_e32 v153, v152
	v_fmac_f32_e32 v154, 0xbf3f9e67, v69
	v_mov_b32_e32 v155, v70
	v_fma_f32 v69, v69, s12, -v75
	v_sub_f32_e32 v75, v79, v137
	v_fmac_f32_e32 v153, 0x3f52af12, v74
	v_fmac_f32_e32 v152, 0xbf52af12, v74
	;; [unrolled: 1-line block ×3, first 2 shown]
	v_add_f32_e32 v67, v69, v67
	v_fmac_f32_e32 v70, 0xbf29c268, v74
	v_add_f32_e32 v69, v136, v78
	v_sub_f32_e32 v74, v78, v136
	v_mul_f32_e32 v78, 0xbf6f5d39, v75
	v_add_f32_e32 v68, v70, v68
	v_add_f32_e32 v70, v137, v79
	v_mov_b32_e32 v79, v78
	v_fmac_f32_e32 v79, 0xbeb58ec6, v69
	v_add_f32_e32 v77, v79, v77
	v_mul_f32_e32 v79, 0xbeb58ec6, v70
	v_mov_b32_e32 v136, v79
	v_fma_f32 v78, v69, s7, -v78
	v_fmac_f32_e32 v79, 0xbf6f5d39, v74
	v_add_f32_e32 v76, v78, v76
	v_add_f32_e32 v78, v79, v86
	v_mul_f32_e32 v79, 0x3f29c268, v75
	v_mov_b32_e32 v86, v79
	v_fmac_f32_e32 v86, 0xbf3f9e67, v69
	v_add_f32_e32 v86, v86, v119
	v_mul_f32_e32 v119, 0xbf3f9e67, v70
	v_mov_b32_e32 v137, v119
	v_fma_f32 v79, v69, s12, -v79
	v_fmac_f32_e32 v119, 0x3f29c268, v74
	v_add_f32_e32 v79, v79, v87
	v_add_f32_e32 v87, v119, v120
	v_mul_f32_e32 v119, 0x3eedf032, v75
	v_fmac_f32_e32 v136, 0x3f6f5d39, v74
	v_mov_b32_e32 v120, v119
	v_fma_f32 v119, v69, s6, -v119
	v_add_f32_e32 v136, v136, v138
	v_fmac_f32_e32 v137, 0xbf29c268, v74
	v_fmac_f32_e32 v120, 0x3f62ad3f, v69
	v_mul_f32_e32 v138, 0x3f62ad3f, v70
	v_add_f32_e32 v119, v119, v139
	v_mul_f32_e32 v139, 0xbf7e222b, v75
	v_add_f32_e32 v137, v137, v140
	v_add_f32_e32 v120, v120, v141
	v_mov_b32_e32 v140, v138
	v_fmac_f32_e32 v138, 0x3eedf032, v74
	v_mov_b32_e32 v141, v139
	v_fma_f32 v139, v69, s2, -v139
	v_fmac_f32_e32 v140, 0xbeedf032, v74
	v_add_f32_e32 v138, v138, v144
	v_fmac_f32_e32 v141, 0x3df6dbef, v69
	v_mul_f32_e32 v144, 0x3df6dbef, v70
	v_add_f32_e32 v139, v139, v146
	v_mul_f32_e32 v146, 0x3e750f2a, v75
	v_add_f32_e32 v140, v140, v145
	v_add_f32_e32 v141, v141, v147
	v_mov_b32_e32 v145, v144
	v_fmac_f32_e32 v144, 0xbf7e222b, v74
	v_mov_b32_e32 v147, v146
	v_fma_f32 v146, v69, s13, -v146
	v_mul_f32_e32 v75, 0x3f52af12, v75
	v_fmac_f32_e32 v145, 0x3f7e222b, v74
	v_add_f32_e32 v144, v144, v148
	v_fmac_f32_e32 v147, 0xbf788fa5, v69
	v_mul_f32_e32 v148, 0xbf788fa5, v70
	v_add_f32_e32 v146, v146, v150
	v_mov_b32_e32 v150, v75
	v_mul_f32_e32 v70, 0x3f116cb1, v70
	v_add_f32_e32 v145, v145, v149
	v_add_f32_e32 v147, v147, v151
	v_mov_b32_e32 v149, v148
	v_fmac_f32_e32 v150, 0x3f116cb1, v69
	v_mov_b32_e32 v151, v70
	v_fma_f32 v69, v69, s3, -v75
	v_sub_f32_e32 v75, v81, v135
	v_fmac_f32_e32 v149, 0xbe750f2a, v74
	v_fmac_f32_e32 v148, 0x3e750f2a, v74
	v_fmac_f32_e32 v151, 0xbf52af12, v74
	v_add_f32_e32 v67, v69, v67
	v_fmac_f32_e32 v70, 0x3f52af12, v74
	v_add_f32_e32 v69, v134, v80
	v_sub_f32_e32 v74, v80, v134
	v_mul_f32_e32 v80, 0xbf29c268, v75
	v_add_f32_e32 v68, v70, v68
	v_add_f32_e32 v70, v135, v81
	v_mov_b32_e32 v81, v80
	v_fmac_f32_e32 v81, 0xbf3f9e67, v69
	v_add_f32_e32 v77, v81, v77
	v_mul_f32_e32 v81, 0xbf3f9e67, v70
	v_fma_f32 v80, v69, s12, -v80
	v_mov_b32_e32 v134, v81
	v_add_f32_e32 v76, v80, v76
	v_fmac_f32_e32 v81, 0xbf29c268, v74
	v_mul_f32_e32 v80, 0x3f7e222b, v75
	v_add_f32_e32 v78, v81, v78
	v_mov_b32_e32 v81, v80
	v_fmac_f32_e32 v81, 0x3df6dbef, v69
	v_add_f32_e32 v81, v81, v86
	v_mul_f32_e32 v86, 0x3df6dbef, v70
	v_mov_b32_e32 v135, v86
	v_fma_f32 v80, v69, s2, -v80
	v_fmac_f32_e32 v86, 0x3f7e222b, v74
	v_add_f32_e32 v79, v80, v79
	v_add_f32_e32 v80, v86, v87
	v_mul_f32_e32 v86, 0xbf52af12, v75
	v_mov_b32_e32 v87, v86
	v_fmac_f32_e32 v87, 0x3f116cb1, v69
	v_fmac_f32_e32 v134, 0x3f29c268, v74
	v_add_f32_e32 v87, v87, v120
	v_mul_f32_e32 v120, 0x3f116cb1, v70
	v_fma_f32 v86, v69, s3, -v86
	v_add_f32_e32 v134, v134, v136
	v_fmac_f32_e32 v135, 0xbf7e222b, v74
	v_mov_b32_e32 v136, v120
	v_add_f32_e32 v86, v86, v119
	v_fmac_f32_e32 v120, 0xbf52af12, v74
	v_mul_f32_e32 v119, 0x3e750f2a, v75
	v_add_f32_e32 v135, v135, v137
	v_add_f32_e32 v137, v120, v138
	v_mov_b32_e32 v120, v119
	v_fmac_f32_e32 v120, 0xbf788fa5, v69
	v_fmac_f32_e32 v136, 0x3f52af12, v74
	v_add_f32_e32 v138, v120, v141
	v_mul_f32_e32 v120, 0xbf788fa5, v70
	v_fma_f32 v119, v69, s13, -v119
	v_add_f32_e32 v136, v136, v140
	v_mov_b32_e32 v140, v120
	v_add_f32_e32 v139, v119, v139
	v_fmac_f32_e32 v120, 0x3e750f2a, v74
	v_mul_f32_e32 v119, 0x3eedf032, v75
	v_add_f32_e32 v141, v120, v144
	v_mov_b32_e32 v120, v119
	v_add_f32_e32 v156, v156, v160
	v_add_f32_e32 v158, v158, v162
	v_fmac_f32_e32 v120, 0x3f62ad3f, v69
	v_fma_f32 v119, v69, s6, -v119
	v_mul_f32_e32 v75, 0xbf6f5d39, v75
	v_add_f32_e32 v152, v152, v156
	v_add_f32_e32 v154, v154, v158
	v_fmac_f32_e32 v140, 0xbe750f2a, v74
	v_add_f32_e32 v144, v120, v147
	v_mul_f32_e32 v120, 0x3f62ad3f, v70
	v_add_f32_e32 v146, v119, v146
	v_mov_b32_e32 v119, v75
	v_add_f32_e32 v157, v157, v161
	v_add_f32_e32 v159, v159, v163
	;; [unrolled: 1-line block ×5, first 2 shown]
	v_mov_b32_e32 v145, v120
	v_fmac_f32_e32 v120, 0x3eedf032, v74
	v_fmac_f32_e32 v119, 0xbeb58ec6, v69
	v_mul_f32_e32 v70, 0xbeb58ec6, v70
	v_add_f32_e32 v153, v153, v157
	v_add_f32_e32 v155, v155, v159
	;; [unrolled: 1-line block ×4, first 2 shown]
	v_mov_b32_e32 v119, v70
	v_add_f32_e32 v149, v149, v153
	v_add_f32_e32 v151, v151, v155
	v_fmac_f32_e32 v145, 0xbeedf032, v74
	v_fmac_f32_e32 v119, 0x3f6f5d39, v74
	v_fma_f32 v69, v69, s7, -v75
	v_fmac_f32_e32 v70, 0xbf6f5d39, v74
	v_add_f32_e32 v153, v85, v83
	v_sub_f32_e32 v155, v83, v85
	v_add_f32_e32 v145, v145, v149
	v_add_f32_e32 v149, v119, v151
	;; [unrolled: 1-line block ×5, first 2 shown]
	v_sub_f32_e32 v154, v82, v84
	v_mul_f32_e32 v69, 0xbe750f2a, v155
	v_mul_f32_e32 v70, 0xbf788fa5, v153
	v_mov_b32_e32 v67, v69
	v_mov_b32_e32 v68, v70
	v_fma_f32 v69, v152, s13, -v69
	v_fmac_f32_e32 v70, 0xbe750f2a, v154
	v_mul_f32_e32 v74, 0x3eedf032, v155
	v_add_f32_e32 v119, v69, v76
	v_add_f32_e32 v120, v70, v78
	v_mov_b32_e32 v69, v74
	v_fma_f32 v74, v152, s6, -v74
	v_mul_f32_e32 v78, 0xbf29c268, v155
	v_fmac_f32_e32 v67, 0xbf788fa5, v152
	v_add_f32_e32 v74, v74, v79
	v_mov_b32_e32 v76, v78
	v_mul_f32_e32 v79, 0xbf3f9e67, v153
	v_add_f32_e32 v67, v67, v77
	v_mul_f32_e32 v75, 0x3f62ad3f, v153
	v_fmac_f32_e32 v76, 0xbf3f9e67, v152
	v_mov_b32_e32 v77, v79
	v_fma_f32 v78, v152, s12, -v78
	v_fmac_f32_e32 v69, 0x3f62ad3f, v152
	v_mov_b32_e32 v70, v75
	v_fmac_f32_e32 v75, 0x3eedf032, v154
	v_add_f32_e32 v76, v76, v87
	v_fmac_f32_e32 v77, 0x3f29c268, v154
	v_add_f32_e32 v78, v78, v86
	v_fmac_f32_e32 v79, 0xbf29c268, v154
	v_mul_f32_e32 v82, 0x3f52af12, v155
	v_mul_f32_e32 v83, 0x3f116cb1, v153
	;; [unrolled: 1-line block ×4, first 2 shown]
	v_fmac_f32_e32 v68, 0x3e750f2a, v154
	v_add_f32_e32 v69, v69, v81
	v_fmac_f32_e32 v70, 0xbeedf032, v154
	v_add_f32_e32 v75, v75, v80
	v_add_f32_e32 v77, v77, v136
	;; [unrolled: 1-line block ×3, first 2 shown]
	v_mov_b32_e32 v80, v82
	v_mov_b32_e32 v81, v83
	;; [unrolled: 1-line block ×4, first 2 shown]
	v_mul_f32_e32 v136, 0x3f7e222b, v155
	v_mul_f32_e32 v137, 0x3df6dbef, v153
	v_add_f32_e32 v68, v68, v134
	v_add_f32_e32 v70, v70, v135
	v_fmac_f32_e32 v80, 0x3f116cb1, v152
	v_fmac_f32_e32 v81, 0xbf52af12, v154
	v_fma_f32 v82, v152, s3, -v82
	v_fmac_f32_e32 v83, 0x3f52af12, v154
	v_fmac_f32_e32 v84, 0xbeb58ec6, v152
	;; [unrolled: 1-line block ×3, first 2 shown]
	v_fma_f32 v86, v152, s7, -v86
	v_fmac_f32_e32 v87, 0xbf6f5d39, v154
	v_mov_b32_e32 v134, v136
	v_mov_b32_e32 v135, v137
	v_add_f32_e32 v80, v80, v138
	v_add_f32_e32 v81, v81, v140
	;; [unrolled: 1-line block ×8, first 2 shown]
	v_fmac_f32_e32 v134, 0x3df6dbef, v152
	v_fmac_f32_e32 v135, 0xbf7e222b, v154
	v_fma_f32 v136, v152, s2, -v136
	v_fmac_f32_e32 v137, 0x3f7e222b, v154
	v_add_f32_e32 v134, v134, v148
	v_add_f32_e32 v135, v135, v149
	v_add_f32_e32 v136, v136, v150
	v_add_f32_e32 v137, v137, v151
	s_barrier
	ds_write2_b64 v71, v[142:143], v[67:68] offset1:1
	ds_write2_b64 v71, v[69:70], v[76:77] offset0:2 offset1:3
	ds_write2_b64 v71, v[80:81], v[84:85] offset0:4 offset1:5
	;; [unrolled: 1-line block ×5, first 2 shown]
	ds_write_b64 v71, v[119:120] offset:96
	s_waitcnt lgkmcnt(0)
	s_barrier
	ds_read2_b64 v[68:71], v121 offset1:117
	ds_read2_b64 v[84:87], v66 offset0:123 offset1:240
	ds_read2_b64 v[80:83], v65 offset0:118 offset1:235
	;; [unrolled: 1-line block ×5, first 2 shown]
	s_and_saveexec_b64 s[2:3], s[0:1]
	s_cbranch_execz .LBB0_11
; %bb.10:
	ds_read_b64 v[119:120], v121 offset:3744
	ds_read_b64 v[117:118], v121 offset:7800
	;; [unrolled: 1-line block ×3, first 2 shown]
.LBB0_11:
	s_or_b64 exec, exec, s[2:3]
	s_waitcnt lgkmcnt(4)
	v_mul_f32_e32 v134, v5, v85
	v_fmac_f32_e32 v134, v4, v84
	v_mul_f32_e32 v5, v5, v84
	s_waitcnt lgkmcnt(3)
	v_mul_f32_e32 v84, v7, v81
	v_fma_f32 v5, v4, v85, -v5
	v_fmac_f32_e32 v84, v6, v80
	v_mul_f32_e32 v4, v7, v80
	v_mul_f32_e32 v80, v1, v87
	;; [unrolled: 1-line block ×3, first 2 shown]
	v_fma_f32 v6, v6, v81, -v4
	v_fmac_f32_e32 v80, v0, v86
	v_fma_f32 v81, v0, v87, -v1
	v_mul_f32_e32 v85, v3, v83
	v_mul_f32_e32 v0, v3, v82
	v_fmac_f32_e32 v85, v2, v82
	v_fma_f32 v82, v2, v83, -v0
	s_waitcnt lgkmcnt(1)
	v_mul_f32_e32 v0, v13, v76
	v_mul_f32_e32 v83, v13, v77
	v_fma_f32 v13, v12, v77, -v0
	s_waitcnt lgkmcnt(0)
	v_mul_f32_e32 v0, v15, v72
	v_fmac_f32_e32 v83, v12, v76
	v_mul_f32_e32 v76, v15, v73
	v_fma_f32 v15, v14, v73, -v0
	v_mul_f32_e32 v0, v17, v78
	v_fma_f32 v73, v16, v79, -v0
	v_mul_f32_e32 v0, v19, v74
	v_fmac_f32_e32 v76, v14, v72
	v_mul_f32_e32 v72, v17, v79
	v_mul_f32_e32 v77, v19, v75
	v_fma_f32 v19, v18, v75, -v0
	v_mul_f32_e32 v0, v9, v117
	v_fmac_f32_e32 v72, v16, v78
	v_fma_f32 v75, v8, v118, -v0
	v_mul_f32_e32 v78, v11, v116
	v_mul_f32_e32 v0, v11, v115
	v_add_f32_e32 v11, v83, v76
	v_fma_f32 v12, -0.5, v11, v64
	v_add_f32_e32 v1, v134, v84
	v_sub_f32_e32 v11, v13, v15
	v_mov_b32_e32 v14, v12
	v_fma_f32 v2, -0.5, v1, v68
	v_fmac_f32_e32 v14, 0xbf5db3d7, v11
	v_fmac_f32_e32 v12, 0x3f5db3d7, v11
	v_add_f32_e32 v11, v65, v13
	v_add_f32_e32 v13, v13, v15
	v_fmac_f32_e32 v77, v18, v74
	v_sub_f32_e32 v1, v5, v6
	v_mov_b32_e32 v4, v2
	v_add_f32_e32 v3, v5, v6
	v_fma_f32 v13, -0.5, v13, v65
	v_fmac_f32_e32 v4, 0xbf5db3d7, v1
	v_fmac_f32_e32 v2, 0x3f5db3d7, v1
	v_add_f32_e32 v1, v69, v5
	v_fma_f32 v3, -0.5, v3, v69
	v_add_f32_e32 v11, v11, v15
	v_sub_f32_e32 v16, v83, v76
	v_mov_b32_e32 v15, v13
	v_add_f32_e32 v17, v72, v77
	v_add_f32_e32 v1, v1, v6
	v_sub_f32_e32 v6, v134, v84
	v_mov_b32_e32 v5, v3
	v_add_f32_e32 v7, v80, v85
	v_fmac_f32_e32 v15, 0x3f5db3d7, v16
	v_fmac_f32_e32 v13, 0xbf5db3d7, v16
	v_add_f32_e32 v16, v66, v72
	v_fma_f32 v66, -0.5, v17, v66
	v_mul_f32_e32 v74, v9, v118
	v_fmac_f32_e32 v5, 0x3f5db3d7, v6
	v_fmac_f32_e32 v3, 0xbf5db3d7, v6
	v_add_f32_e32 v6, v70, v80
	v_fma_f32 v70, -0.5, v7, v70
	v_sub_f32_e32 v17, v73, v19
	v_mov_b32_e32 v18, v66
	v_fmac_f32_e32 v74, v8, v117
	v_sub_f32_e32 v7, v81, v82
	v_mov_b32_e32 v8, v70
	v_add_f32_e32 v9, v81, v82
	v_fmac_f32_e32 v18, 0xbf5db3d7, v17
	v_fmac_f32_e32 v66, 0x3f5db3d7, v17
	v_add_f32_e32 v17, v67, v73
	v_fmac_f32_e32 v8, 0xbf5db3d7, v7
	v_fmac_f32_e32 v70, 0x3f5db3d7, v7
	v_add_f32_e32 v7, v71, v81
	v_fmac_f32_e32 v71, -0.5, v9
	v_add_f32_e32 v17, v17, v19
	v_add_f32_e32 v19, v73, v19
	v_fmac_f32_e32 v78, v10, v115
	v_fma_f32 v79, v10, v116, -v0
	v_sub_f32_e32 v10, v80, v85
	v_mov_b32_e32 v9, v71
	v_fmac_f32_e32 v67, -0.5, v19
	v_fmac_f32_e32 v9, 0x3f5db3d7, v10
	v_fmac_f32_e32 v71, 0xbf5db3d7, v10
	v_add_f32_e32 v10, v64, v83
	v_sub_f32_e32 v64, v72, v77
	v_mov_b32_e32 v19, v67
	v_fmac_f32_e32 v19, 0x3f5db3d7, v64
	v_fmac_f32_e32 v67, 0xbf5db3d7, v64
	v_add_f32_e32 v64, v119, v74
	v_add_f32_e32 v0, v68, v134
	;; [unrolled: 1-line block ×4, first 2 shown]
	v_fmac_f32_e32 v119, -0.5, v64
	v_sub_f32_e32 v64, v75, v79
	v_mov_b32_e32 v72, v119
	v_fmac_f32_e32 v72, 0xbf5db3d7, v64
	v_fmac_f32_e32 v119, 0x3f5db3d7, v64
	v_add_f32_e32 v64, v120, v75
	v_add_f32_e32 v69, v64, v79
	;; [unrolled: 1-line block ×3, first 2 shown]
	v_fmac_f32_e32 v120, -0.5, v64
	v_sub_f32_e32 v64, v74, v78
	v_mov_b32_e32 v73, v120
	v_add_f32_e32 v0, v0, v84
	v_fmac_f32_e32 v73, 0x3f5db3d7, v64
	v_fmac_f32_e32 v120, 0xbf5db3d7, v64
	v_add_f32_e32 v6, v6, v85
	v_add_f32_e32 v7, v7, v82
	;; [unrolled: 1-line block ×4, first 2 shown]
	s_barrier
	ds_write2_b64 v125, v[0:1], v[4:5] offset1:13
	ds_write_b64 v125, v[2:3] offset:208
	ds_write2_b64 v126, v[6:7], v[8:9] offset1:13
	ds_write_b64 v126, v[70:71] offset:208
	;; [unrolled: 2-line block ×4, first 2 shown]
	s_and_saveexec_b64 s[2:3], s[0:1]
	s_cbranch_execz .LBB0_13
; %bb.12:
	v_mad_legacy_u16 v0, v123, 39, v124
	v_lshlrev_b32_e32 v0, 3, v0
	ds_write2_b64 v0, v[68:69], v[72:73] offset1:13
	ds_write_b64 v0, v[119:120] offset:208
.LBB0_13:
	s_or_b64 exec, exec, s[2:3]
	v_add_u32_e32 v0, 0xc00, v121
	s_waitcnt lgkmcnt(0)
	s_barrier
	ds_read2_b64 v[64:67], v0 offset0:123 offset1:240
	v_add_u32_e32 v0, 0x1c00, v121
	v_add_u32_e32 v8, 0x1400, v121
	ds_read2_b64 v[16:19], v0 offset0:118 offset1:235
	v_add_u32_e32 v0, 0x400, v121
	ds_read2_b64 v[12:15], v8 offset0:101 offset1:218
	v_add_u32_e32 v8, 0x2400, v121
	ds_read2_b64 v[4:7], v121 offset1:117
	ds_read2_b64 v[0:3], v0 offset0:106 offset1:223
	ds_read2_b64 v[8:11], v8 offset0:96 offset1:213
	s_and_saveexec_b64 s[2:3], s[0:1]
	s_cbranch_execz .LBB0_15
; %bb.14:
	ds_read_b64 v[68:69], v121 offset:3744
	ds_read_b64 v[72:73], v121 offset:7800
	ds_read_b64 v[119:120], v121 offset:11856
.LBB0_15:
	s_or_b64 exec, exec, s[2:3]
	s_waitcnt lgkmcnt(5)
	v_mul_f32_e32 v70, v37, v65
	v_mul_f32_e32 v37, v37, v64
	v_fmac_f32_e32 v70, v36, v64
	v_fma_f32 v36, v36, v65, -v37
	s_waitcnt lgkmcnt(4)
	v_mul_f32_e32 v37, v39, v17
	v_fmac_f32_e32 v37, v38, v16
	v_mul_f32_e32 v16, v39, v16
	v_fma_f32 v16, v38, v17, -v16
	v_mul_f32_e32 v17, v33, v67
	v_mul_f32_e32 v33, v33, v66
	v_fmac_f32_e32 v17, v32, v66
	v_fma_f32 v32, v32, v67, -v33
	v_mul_f32_e32 v33, v35, v19
	v_fmac_f32_e32 v33, v34, v18
	v_mul_f32_e32 v18, v35, v18
	v_fma_f32 v18, v34, v19, -v18
	s_waitcnt lgkmcnt(3)
	v_mul_f32_e32 v19, v25, v13
	v_fmac_f32_e32 v19, v24, v12
	v_mul_f32_e32 v12, v25, v12
	s_waitcnt lgkmcnt(0)
	v_mul_f32_e32 v25, v27, v9
	v_fmac_f32_e32 v25, v26, v8
	v_mul_f32_e32 v8, v27, v8
	v_fma_f32 v26, v26, v9, -v8
	v_mul_f32_e32 v27, v29, v15
	v_mul_f32_e32 v8, v29, v14
	v_fmac_f32_e32 v27, v28, v14
	v_fma_f32 v28, v28, v15, -v8
	v_mul_f32_e32 v29, v31, v11
	v_mul_f32_e32 v8, v31, v10
	v_add_f32_e32 v9, v70, v37
	v_fmac_f32_e32 v29, v30, v10
	v_fma_f32 v30, v30, v11, -v8
	v_add_f32_e32 v8, v4, v70
	v_fma_f32 v4, -0.5, v9, v4
	v_sub_f32_e32 v9, v36, v16
	v_mov_b32_e32 v10, v4
	v_add_f32_e32 v11, v36, v16
	v_fmac_f32_e32 v10, 0xbf5db3d7, v9
	v_fmac_f32_e32 v4, 0x3f5db3d7, v9
	v_add_f32_e32 v9, v5, v36
	v_fma_f32 v5, -0.5, v11, v5
	v_fma_f32 v24, v24, v13, -v12
	v_sub_f32_e32 v12, v70, v37
	v_mov_b32_e32 v11, v5
	v_add_f32_e32 v13, v17, v33
	v_fmac_f32_e32 v11, 0x3f5db3d7, v12
	v_fmac_f32_e32 v5, 0xbf5db3d7, v12
	v_add_f32_e32 v12, v6, v17
	v_fma_f32 v6, -0.5, v13, v6
	v_sub_f32_e32 v13, v32, v18
	v_mov_b32_e32 v14, v6
	v_add_f32_e32 v15, v32, v18
	v_fmac_f32_e32 v14, 0xbf5db3d7, v13
	v_fmac_f32_e32 v6, 0x3f5db3d7, v13
	v_add_f32_e32 v13, v7, v32
	v_fmac_f32_e32 v7, -0.5, v15
	v_add_f32_e32 v9, v9, v16
	v_sub_f32_e32 v16, v17, v33
	v_mov_b32_e32 v15, v7
	v_add_f32_e32 v17, v19, v25
	v_fmac_f32_e32 v15, 0x3f5db3d7, v16
	v_fmac_f32_e32 v7, 0xbf5db3d7, v16
	v_add_f32_e32 v16, v0, v19
	v_fma_f32 v0, -0.5, v17, v0
	v_add_f32_e32 v13, v13, v18
	v_sub_f32_e32 v17, v24, v26
	v_mov_b32_e32 v18, v0
	v_fmac_f32_e32 v18, 0xbf5db3d7, v17
	v_fmac_f32_e32 v0, 0x3f5db3d7, v17
	v_add_f32_e32 v17, v1, v24
	v_add_f32_e32 v24, v24, v26
	v_fma_f32 v1, -0.5, v24, v1
	v_add_f32_e32 v16, v16, v25
	v_sub_f32_e32 v24, v19, v25
	v_mov_b32_e32 v19, v1
	v_add_f32_e32 v25, v27, v29
	v_fmac_f32_e32 v19, 0x3f5db3d7, v24
	v_fmac_f32_e32 v1, 0xbf5db3d7, v24
	v_add_f32_e32 v24, v2, v27
	v_fma_f32 v2, -0.5, v25, v2
	v_add_f32_e32 v17, v17, v26
	v_sub_f32_e32 v25, v28, v30
	v_mov_b32_e32 v26, v2
	v_fmac_f32_e32 v26, 0xbf5db3d7, v25
	v_fmac_f32_e32 v2, 0x3f5db3d7, v25
	v_add_f32_e32 v25, v3, v28
	v_add_f32_e32 v28, v28, v30
	v_fmac_f32_e32 v3, -0.5, v28
	v_add_f32_e32 v8, v8, v37
	v_sub_f32_e32 v28, v27, v29
	v_mov_b32_e32 v27, v3
	v_add_f32_e32 v12, v12, v33
	v_add_f32_e32 v24, v24, v29
	;; [unrolled: 1-line block ×3, first 2 shown]
	v_fmac_f32_e32 v27, 0x3f5db3d7, v28
	v_fmac_f32_e32 v3, 0xbf5db3d7, v28
	s_barrier
	ds_write2_b64 v130, v[8:9], v[10:11] offset1:39
	ds_write_b64 v130, v[4:5] offset:624
	ds_write2_b64 v131, v[12:13], v[14:15] offset1:39
	ds_write_b64 v131, v[6:7] offset:624
	;; [unrolled: 2-line block ×4, first 2 shown]
	s_and_saveexec_b64 s[2:3], s[0:1]
	s_cbranch_execz .LBB0_17
; %bb.16:
	v_mul_f32_e32 v0, v21, v72
	v_fma_f32 v2, v20, v73, -v0
	v_mul_f32_e32 v0, v23, v119
	v_fma_f32 v4, v22, v120, -v0
	v_add_f32_e32 v0, v2, v4
	v_mul_f32_e32 v6, v21, v73
	v_mul_f32_e32 v7, v23, v120
	v_fma_f32 v1, -0.5, v0, v69
	v_fmac_f32_e32 v6, v20, v72
	v_fmac_f32_e32 v7, v22, v119
	v_sub_f32_e32 v0, v6, v7
	v_mov_b32_e32 v3, v1
	v_fmac_f32_e32 v3, 0xbf5db3d7, v0
	v_fmac_f32_e32 v1, 0x3f5db3d7, v0
	v_add_f32_e32 v0, v69, v2
	v_add_f32_e32 v5, v0, v4
	;; [unrolled: 1-line block ×3, first 2 shown]
	v_fma_f32 v0, -0.5, v0, v68
	v_sub_f32_e32 v4, v2, v4
	v_mov_b32_e32 v2, v0
	v_fmac_f32_e32 v2, 0x3f5db3d7, v4
	v_fmac_f32_e32 v0, 0xbf5db3d7, v4
	v_add_f32_e32 v4, v68, v6
	v_add_f32_e32 v4, v4, v7
	v_add_u32_e32 v6, 0x2800, v129
	ds_write2_b64 v6, v[4:5], v[0:1] offset0:124 offset1:163
	ds_write_b64 v129, v[2:3] offset:11856
.LBB0_17:
	s_or_b64 exec, exec, s[2:3]
	s_waitcnt lgkmcnt(0)
	s_barrier
	ds_read2_b64 v[7:10], v121 offset1:117
	v_add_u32_e32 v6, 0x400, v121
	ds_read2_b64 v[11:14], v6 offset0:106 offset1:223
	v_add_u32_e32 v5, 0xc00, v121
	ds_read2_b64 v[15:18], v5 offset0:84 offset1:201
	v_add_u32_e32 v4, 0x1400, v121
	s_waitcnt lgkmcnt(2)
	v_mul_f32_e32 v33, v57, v10
	ds_read2_b64 v[19:22], v4 offset0:62 offset1:179
	v_fmac_f32_e32 v33, v56, v9
	v_mul_f32_e32 v9, v57, v9
	v_add_u32_e32 v3, 0x1c00, v121
	v_fma_f32 v34, v56, v10, -v9
	s_waitcnt lgkmcnt(2)
	v_mul_f32_e32 v35, v59, v12
	v_mul_f32_e32 v9, v59, v11
	ds_read2_b64 v[23:26], v3 offset0:40 offset1:157
	v_fmac_f32_e32 v35, v58, v11
	v_fma_f32 v11, v58, v12, -v9
	v_mul_f32_e32 v12, v49, v14
	v_mul_f32_e32 v9, v49, v13
	v_fmac_f32_e32 v12, v48, v13
	v_fma_f32 v13, v48, v14, -v9
	s_waitcnt lgkmcnt(2)
	v_mul_f32_e32 v14, v51, v16
	v_mul_f32_e32 v9, v51, v15
	v_add_u32_e32 v2, 0x2400, v121
	v_fmac_f32_e32 v14, v50, v15
	v_fma_f32 v15, v50, v16, -v9
	v_mul_f32_e32 v16, v45, v18
	v_mul_f32_e32 v9, v45, v17
	ds_read2_b64 v[27:30], v2 offset0:18 offset1:135
	ds_read_b64 v[31:32], v121 offset:11232
	v_fmac_f32_e32 v16, v44, v17
	v_fma_f32 v17, v44, v18, -v9
	s_waitcnt lgkmcnt(3)
	v_mul_f32_e32 v18, v47, v20
	v_mul_f32_e32 v9, v47, v19
	v_fmac_f32_e32 v18, v46, v19
	v_fma_f32 v19, v46, v20, -v9
	v_mul_f32_e32 v20, v41, v22
	v_mul_f32_e32 v9, v41, v21
	v_fmac_f32_e32 v20, v40, v21
	v_fma_f32 v21, v40, v22, -v9
	s_waitcnt lgkmcnt(2)
	v_mul_f32_e32 v22, v43, v24
	v_mul_f32_e32 v9, v43, v23
	v_fmac_f32_e32 v22, v42, v23
	v_fma_f32 v23, v42, v24, -v9
	v_mul_f32_e32 v24, v61, v26
	v_mul_f32_e32 v9, v61, v25
	;; [unrolled: 9-line block ×3, first 2 shown]
	v_fmac_f32_e32 v28, v52, v29
	v_fma_f32 v29, v52, v30, -v9
	s_waitcnt lgkmcnt(0)
	v_mul_f32_e32 v30, v55, v32
	v_mul_f32_e32 v9, v55, v31
	v_add_f32_e32 v10, v8, v34
	v_fmac_f32_e32 v30, v54, v31
	v_fma_f32 v31, v54, v32, -v9
	v_add_f32_e32 v9, v7, v33
	v_add_f32_e32 v10, v10, v11
	;; [unrolled: 1-line block ×23, first 2 shown]
	v_sub_f32_e32 v31, v34, v31
	v_mad_u64_u32 v[0:1], s[0:1], s10, v98, 0
	v_add_f32_e32 v9, v9, v30
	v_add_f32_e32 v32, v33, v30
	v_sub_f32_e32 v30, v33, v30
	v_mul_f32_e32 v33, 0xbeedf032, v31
	v_mul_f32_e32 v39, 0xbf52af12, v31
	;; [unrolled: 1-line block ×6, first 2 shown]
	s_mov_b32 s2, 0x3f62ad3f
	s_mov_b32 s1, 0x3f116cb1
	;; [unrolled: 1-line block ×6, first 2 shown]
	v_mov_b32_e32 v55, v31
	v_fma_f32 v34, v32, s2, -v33
	v_fmac_f32_e32 v33, 0x3f62ad3f, v32
	v_mul_f32_e32 v37, 0x3f62ad3f, v36
	v_fma_f32 v40, v32, s1, -v39
	v_fmac_f32_e32 v39, 0x3f116cb1, v32
	v_mul_f32_e32 v41, 0x3f116cb1, v36
	;; [unrolled: 3-line block ×5, first 2 shown]
	v_fmac_f32_e32 v55, 0xbf788fa5, v32
	v_mul_f32_e32 v36, 0xbf788fa5, v36
	v_fma_f32 v31, v32, s7, -v31
	v_add_f32_e32 v33, v7, v33
	v_mov_b32_e32 v38, v37
	v_add_f32_e32 v34, v7, v34
	v_add_f32_e32 v39, v7, v39
	v_mov_b32_e32 v42, v41
	v_add_f32_e32 v40, v7, v40
	v_add_f32_e32 v43, v7, v43
	v_mov_b32_e32 v46, v45
	v_add_f32_e32 v44, v7, v44
	v_add_f32_e32 v47, v7, v47
	v_mov_b32_e32 v50, v49
	v_add_f32_e32 v48, v7, v48
	v_add_f32_e32 v51, v7, v51
	v_mov_b32_e32 v54, v53
	v_add_f32_e32 v52, v7, v52
	v_add_f32_e32 v55, v7, v55
	v_mov_b32_e32 v56, v36
	v_add_f32_e32 v7, v7, v31
	v_add_f32_e32 v31, v11, v29
	v_sub_f32_e32 v11, v11, v29
	v_fmac_f32_e32 v38, 0x3eedf032, v30
	v_fmac_f32_e32 v37, 0xbeedf032, v30
	;; [unrolled: 1-line block ×12, first 2 shown]
	v_add_f32_e32 v30, v35, v28
	v_mul_f32_e32 v29, 0xbf52af12, v11
	v_fma_f32 v32, v30, s1, -v29
	v_fmac_f32_e32 v29, 0x3f116cb1, v30
	v_sub_f32_e32 v28, v35, v28
	v_add_f32_e32 v29, v29, v33
	v_mul_f32_e32 v33, 0x3f116cb1, v31
	v_add_f32_e32 v37, v8, v37
	v_mov_b32_e32 v35, v33
	v_add_f32_e32 v32, v32, v34
	v_fmac_f32_e32 v33, 0xbf52af12, v28
	v_mul_f32_e32 v34, 0xbf6f5d39, v11
	v_add_f32_e32 v38, v8, v38
	v_add_f32_e32 v42, v8, v42
	;; [unrolled: 1-line block ×11, first 2 shown]
	v_fmac_f32_e32 v35, 0x3f52af12, v28
	v_add_f32_e32 v33, v33, v37
	v_fma_f32 v36, v30, s3, -v34
	v_fmac_f32_e32 v34, 0xbeb58ec6, v30
	v_mul_f32_e32 v37, 0xbeb58ec6, v31
	v_add_f32_e32 v35, v35, v38
	v_add_f32_e32 v34, v34, v39
	v_mov_b32_e32 v38, v37
	v_fmac_f32_e32 v37, 0xbf6f5d39, v28
	v_mul_f32_e32 v39, 0xbe750f2a, v11
	v_fmac_f32_e32 v38, 0x3f6f5d39, v28
	v_add_f32_e32 v36, v36, v40
	v_add_f32_e32 v37, v37, v41
	v_fma_f32 v40, v30, s7, -v39
	v_fmac_f32_e32 v39, 0xbf788fa5, v30
	v_mul_f32_e32 v41, 0xbf788fa5, v31
	v_add_f32_e32 v38, v38, v42
	v_add_f32_e32 v39, v39, v43
	v_mov_b32_e32 v42, v41
	v_fmac_f32_e32 v41, 0xbe750f2a, v28
	v_mul_f32_e32 v43, 0x3f29c268, v11
	v_fmac_f32_e32 v42, 0x3e750f2a, v28
	v_add_f32_e32 v40, v40, v44
	;; [unrolled: 11-line block ×3, first 2 shown]
	v_add_f32_e32 v45, v45, v49
	v_fma_f32 v48, v30, s0, -v47
	v_mul_f32_e32 v49, 0x3df6dbef, v31
	v_mul_f32_e32 v31, 0x3f62ad3f, v31
	v_add_f32_e32 v46, v46, v50
	v_fmac_f32_e32 v47, 0x3df6dbef, v30
	v_mov_b32_e32 v50, v49
	v_add_f32_e32 v48, v48, v52
	v_mul_f32_e32 v11, 0x3eedf032, v11
	v_mov_b32_e32 v52, v31
	v_add_f32_e32 v47, v47, v51
	v_fmac_f32_e32 v50, 0xbf7e222b, v28
	v_fmac_f32_e32 v49, 0x3f7e222b, v28
	v_mov_b32_e32 v51, v11
	v_fmac_f32_e32 v52, 0xbeedf032, v28
	v_fma_f32 v11, v30, s2, -v11
	v_fmac_f32_e32 v31, 0x3eedf032, v28
	v_add_f32_e32 v28, v13, v27
	v_sub_f32_e32 v13, v13, v27
	v_add_f32_e32 v7, v11, v7
	v_add_f32_e32 v11, v12, v26
	v_sub_f32_e32 v12, v12, v26
	v_mul_f32_e32 v26, 0xbf7e222b, v13
	v_fma_f32 v27, v11, s0, -v26
	v_fmac_f32_e32 v26, 0x3df6dbef, v11
	v_add_f32_e32 v26, v26, v29
	v_mul_f32_e32 v29, 0x3df6dbef, v28
	v_fmac_f32_e32 v51, 0x3f62ad3f, v30
	v_mov_b32_e32 v30, v29
	v_add_f32_e32 v8, v31, v8
	v_fmac_f32_e32 v30, 0x3f7e222b, v12
	v_mul_f32_e32 v31, 0xbe750f2a, v13
	v_add_f32_e32 v30, v30, v35
	v_add_f32_e32 v27, v27, v32
	v_fmac_f32_e32 v29, 0xbf7e222b, v12
	v_fma_f32 v32, v11, s7, -v31
	v_mul_f32_e32 v35, 0x3f6f5d39, v13
	v_add_f32_e32 v29, v29, v33
	v_fmac_f32_e32 v31, 0xbf788fa5, v11
	v_mul_f32_e32 v33, 0xbf788fa5, v28
	v_add_f32_e32 v32, v32, v36
	v_fma_f32 v36, v11, s3, -v35
	v_fmac_f32_e32 v35, 0xbeb58ec6, v11
	v_add_f32_e32 v31, v31, v34
	v_mov_b32_e32 v34, v33
	v_fmac_f32_e32 v33, 0xbe750f2a, v12
	v_add_f32_e32 v35, v35, v39
	v_mul_f32_e32 v39, 0x3eedf032, v13
	v_fmac_f32_e32 v34, 0x3e750f2a, v12
	v_add_f32_e32 v33, v33, v37
	v_mul_f32_e32 v37, 0xbeb58ec6, v28
	v_add_f32_e32 v36, v36, v40
	v_fma_f32 v40, v11, s2, -v39
	v_fmac_f32_e32 v39, 0x3f62ad3f, v11
	v_add_f32_e32 v34, v34, v38
	v_mov_b32_e32 v38, v37
	v_fmac_f32_e32 v37, 0x3f6f5d39, v12
	v_add_f32_e32 v39, v39, v43
	v_mul_f32_e32 v43, 0xbf52af12, v13
	v_fmac_f32_e32 v38, 0xbf6f5d39, v12
	v_add_f32_e32 v37, v37, v41
	v_mul_f32_e32 v41, 0x3f62ad3f, v28
	v_add_f32_e32 v40, v40, v44
	v_fma_f32 v44, v11, s1, -v43
	v_fmac_f32_e32 v43, 0x3f116cb1, v11
	v_mul_f32_e32 v13, 0xbf29c268, v13
	v_add_f32_e32 v38, v38, v42
	v_mov_b32_e32 v42, v41
	v_fmac_f32_e32 v41, 0x3eedf032, v12
	v_add_f32_e32 v43, v43, v47
	v_mov_b32_e32 v47, v13
	v_fmac_f32_e32 v42, 0xbeedf032, v12
	v_add_f32_e32 v41, v41, v45
	v_mul_f32_e32 v45, 0x3f116cb1, v28
	v_fmac_f32_e32 v47, 0xbf3f9e67, v11
	v_mul_f32_e32 v28, 0xbf3f9e67, v28
	v_fma_f32 v11, v11, s6, -v13
	v_add_f32_e32 v42, v42, v46
	v_mov_b32_e32 v46, v45
	v_add_f32_e32 v44, v44, v48
	v_mov_b32_e32 v48, v28
	v_add_f32_e32 v7, v11, v7
	v_add_f32_e32 v11, v14, v24
	v_sub_f32_e32 v13, v14, v24
	v_sub_f32_e32 v14, v15, v25
	v_fmac_f32_e32 v46, 0x3f52af12, v12
	v_fmac_f32_e32 v45, 0xbf52af12, v12
	;; [unrolled: 1-line block ×4, first 2 shown]
	v_add_f32_e32 v12, v15, v25
	v_mul_f32_e32 v15, 0xbf6f5d39, v14
	v_fma_f32 v24, v11, s3, -v15
	v_fmac_f32_e32 v15, 0xbeb58ec6, v11
	v_mul_f32_e32 v25, 0xbeb58ec6, v12
	v_add_f32_e32 v24, v24, v27
	v_mul_f32_e32 v27, 0x3f29c268, v14
	v_add_f32_e32 v8, v28, v8
	v_add_f32_e32 v15, v15, v26
	v_mov_b32_e32 v26, v25
	v_fmac_f32_e32 v25, 0xbf6f5d39, v13
	v_fma_f32 v28, v11, s6, -v27
	v_fmac_f32_e32 v27, 0xbf3f9e67, v11
	v_fmac_f32_e32 v26, 0x3f6f5d39, v13
	v_add_f32_e32 v25, v25, v29
	v_add_f32_e32 v27, v27, v31
	v_mul_f32_e32 v29, 0xbf3f9e67, v12
	v_mul_f32_e32 v31, 0x3eedf032, v14
	v_add_f32_e32 v26, v26, v30
	v_mov_b32_e32 v30, v29
	v_add_f32_e32 v28, v28, v32
	v_fmac_f32_e32 v29, 0x3f29c268, v13
	v_fma_f32 v32, v11, s2, -v31
	v_fmac_f32_e32 v31, 0x3f62ad3f, v11
	v_fmac_f32_e32 v30, 0xbf29c268, v13
	v_add_f32_e32 v29, v29, v33
	v_add_f32_e32 v31, v31, v35
	v_mul_f32_e32 v33, 0x3f62ad3f, v12
	v_mul_f32_e32 v35, 0xbf7e222b, v14
	v_add_f32_e32 v30, v30, v34
	v_mov_b32_e32 v34, v33
	v_add_f32_e32 v32, v32, v36
	;; [unrolled: 11-line block ×3, first 2 shown]
	v_fmac_f32_e32 v37, 0xbf7e222b, v13
	v_fma_f32 v40, v11, s7, -v39
	v_fmac_f32_e32 v39, 0xbf788fa5, v11
	v_mul_f32_e32 v14, 0x3f52af12, v14
	v_fmac_f32_e32 v38, 0x3f7e222b, v13
	v_add_f32_e32 v37, v37, v41
	v_add_f32_e32 v39, v39, v43
	v_mul_f32_e32 v41, 0xbf788fa5, v12
	v_mov_b32_e32 v43, v14
	v_mul_f32_e32 v12, 0x3f116cb1, v12
	v_add_f32_e32 v38, v38, v42
	v_mov_b32_e32 v42, v41
	v_add_f32_e32 v40, v40, v44
	v_fmac_f32_e32 v43, 0x3f116cb1, v11
	v_mov_b32_e32 v44, v12
	v_fma_f32 v11, v11, s1, -v14
	v_sub_f32_e32 v14, v17, v23
	v_fmac_f32_e32 v42, 0xbe750f2a, v13
	v_fmac_f32_e32 v41, 0x3e750f2a, v13
	;; [unrolled: 1-line block ×3, first 2 shown]
	v_add_f32_e32 v7, v11, v7
	v_fmac_f32_e32 v12, 0x3f52af12, v13
	v_add_f32_e32 v11, v16, v22
	v_sub_f32_e32 v13, v16, v22
	v_mul_f32_e32 v16, 0xbf29c268, v14
	v_add_f32_e32 v8, v12, v8
	v_add_f32_e32 v12, v17, v23
	v_fma_f32 v17, v11, s6, -v16
	v_fmac_f32_e32 v16, 0xbf3f9e67, v11
	v_add_f32_e32 v15, v16, v15
	v_mul_f32_e32 v16, 0xbf3f9e67, v12
	v_mov_b32_e32 v22, v16
	v_fmac_f32_e32 v16, 0xbf29c268, v13
	v_mul_f32_e32 v23, 0x3f7e222b, v14
	v_fmac_f32_e32 v22, 0x3f29c268, v13
	v_add_f32_e32 v17, v17, v24
	v_add_f32_e32 v16, v16, v25
	v_fma_f32 v24, v11, s0, -v23
	v_fmac_f32_e32 v23, 0x3df6dbef, v11
	v_mul_f32_e32 v25, 0x3df6dbef, v12
	v_add_f32_e32 v22, v22, v26
	v_add_f32_e32 v23, v23, v27
	v_mov_b32_e32 v26, v25
	v_fmac_f32_e32 v25, 0x3f7e222b, v13
	v_mul_f32_e32 v27, 0xbf52af12, v14
	v_fmac_f32_e32 v26, 0xbf7e222b, v13
	v_add_f32_e32 v24, v24, v28
	v_add_f32_e32 v25, v25, v29
	v_fma_f32 v28, v11, s1, -v27
	v_fmac_f32_e32 v27, 0x3f116cb1, v11
	v_mul_f32_e32 v29, 0x3f116cb1, v12
	v_add_f32_e32 v26, v26, v30
	v_add_f32_e32 v27, v27, v31
	;; [unrolled: 11-line block ×3, first 2 shown]
	v_mov_b32_e32 v34, v33
	v_fmac_f32_e32 v33, 0x3e750f2a, v13
	v_mul_f32_e32 v35, 0x3eedf032, v14
	v_add_f32_e32 v52, v52, v56
	v_add_f32_e32 v32, v32, v36
	;; [unrolled: 1-line block ×3, first 2 shown]
	v_fma_f32 v36, v11, s2, -v35
	v_mul_f32_e32 v37, 0x3f62ad3f, v12
	v_mul_f32_e32 v12, 0xbeb58ec6, v12
	v_add_f32_e32 v50, v50, v54
	v_add_f32_e32 v49, v49, v53
	;; [unrolled: 1-line block ×4, first 2 shown]
	v_fmac_f32_e32 v34, 0xbe750f2a, v13
	v_fmac_f32_e32 v35, 0x3f62ad3f, v11
	v_add_f32_e32 v36, v36, v40
	v_mul_f32_e32 v14, 0xbf6f5d39, v14
	v_mov_b32_e32 v40, v12
	v_add_f32_e32 v46, v46, v50
	v_add_f32_e32 v45, v45, v49
	;; [unrolled: 1-line block ×6, first 2 shown]
	v_mov_b32_e32 v38, v37
	v_mov_b32_e32 v39, v14
	v_fmac_f32_e32 v40, 0x3f6f5d39, v13
	v_add_f32_e32 v42, v42, v46
	v_add_f32_e32 v41, v41, v45
	;; [unrolled: 1-line block ×3, first 2 shown]
	v_fmac_f32_e32 v38, 0xbeedf032, v13
	v_fmac_f32_e32 v37, 0x3eedf032, v13
	;; [unrolled: 1-line block ×3, first 2 shown]
	v_add_f32_e32 v40, v40, v44
	v_fma_f32 v11, v11, s3, -v14
	v_fmac_f32_e32 v12, 0xbf6f5d39, v13
	v_add_f32_e32 v44, v19, v21
	v_sub_f32_e32 v46, v19, v21
	v_add_f32_e32 v38, v38, v42
	v_add_f32_e32 v37, v37, v41
	;; [unrolled: 1-line block ×6, first 2 shown]
	v_sub_f32_e32 v45, v18, v20
	v_mul_f32_e32 v7, 0xbe750f2a, v46
	v_mul_f32_e32 v12, 0xbf788fa5, v44
	v_fma_f32 v11, v43, s7, -v7
	v_fmac_f32_e32 v7, 0xbf788fa5, v43
	v_mov_b32_e32 v8, v12
	v_fmac_f32_e32 v12, 0xbe750f2a, v45
	v_mul_f32_e32 v13, 0x3eedf032, v46
	v_add_f32_e32 v7, v7, v15
	v_add_f32_e32 v11, v11, v17
	;; [unrolled: 1-line block ×3, first 2 shown]
	v_fma_f32 v15, v43, s2, -v13
	v_fmac_f32_e32 v13, 0x3f62ad3f, v43
	v_mul_f32_e32 v16, 0x3f62ad3f, v44
	v_mul_f32_e32 v17, 0xbf29c268, v46
	;; [unrolled: 1-line block ×4, first 2 shown]
	v_add_f32_e32 v13, v13, v23
	v_mov_b32_e32 v14, v16
	v_fma_f32 v19, v43, s6, -v17
	v_mov_b32_e32 v18, v20
	v_fma_f32 v23, v43, s1, -v21
	v_fmac_f32_e32 v21, 0x3f116cb1, v43
	v_fmac_f32_e32 v8, 0x3e750f2a, v45
	;; [unrolled: 1-line block ×3, first 2 shown]
	v_add_f32_e32 v15, v15, v24
	v_fmac_f32_e32 v16, 0x3eedf032, v45
	v_fmac_f32_e32 v18, 0x3f29c268, v45
	v_add_f32_e32 v19, v19, v28
	v_fmac_f32_e32 v20, 0xbf29c268, v45
	v_add_f32_e32 v21, v21, v31
	v_mul_f32_e32 v24, 0x3f116cb1, v44
	v_add_f32_e32 v23, v23, v32
	v_mul_f32_e32 v28, 0xbeb58ec6, v44
	v_mul_f32_e32 v31, 0x3f7e222b, v46
	;; [unrolled: 1-line block ×3, first 2 shown]
	v_add_f32_e32 v8, v8, v22
	v_add_f32_e32 v14, v14, v26
	;; [unrolled: 1-line block ×3, first 2 shown]
	v_fmac_f32_e32 v17, 0xbf3f9e67, v43
	v_add_f32_e32 v18, v18, v30
	v_add_f32_e32 v20, v20, v29
	v_mov_b32_e32 v22, v24
	v_mul_f32_e32 v25, 0xbf6f5d39, v46
	v_mov_b32_e32 v26, v28
	v_mov_b32_e32 v29, v31
	;; [unrolled: 1-line block ×3, first 2 shown]
	v_add_f32_e32 v17, v17, v27
	v_fmac_f32_e32 v22, 0xbf52af12, v45
	v_fmac_f32_e32 v24, 0x3f52af12, v45
	v_fma_f32 v27, v43, s3, -v25
	v_fmac_f32_e32 v25, 0xbeb58ec6, v43
	v_fmac_f32_e32 v26, 0x3f6f5d39, v45
	;; [unrolled: 1-line block ×5, first 2 shown]
	v_fma_f32 v31, v43, s0, -v31
	v_fmac_f32_e32 v32, 0x3f7e222b, v45
	v_add_f32_e32 v22, v22, v34
	v_add_f32_e32 v24, v24, v33
	;; [unrolled: 1-line block ×10, first 2 shown]
	ds_write2_b64 v121, v[9:10], v[7:8] offset1:117
	ds_write2_b64 v6, v[13:14], v[17:18] offset0:106 offset1:223
	ds_write2_b64 v5, v[21:22], v[25:26] offset0:84 offset1:201
	;; [unrolled: 1-line block ×5, first 2 shown]
	ds_write_b64 v121, v[11:12] offset:11232
	s_waitcnt lgkmcnt(0)
	s_barrier
	ds_read2_b64 v[7:10], v121 offset1:117
	s_mov_b32 s0, 0x509ee28c
	s_mov_b32 s1, 0x3f458b31
	v_mad_u64_u32 v[13:14], s[2:3], s8, v122, 0
	s_waitcnt lgkmcnt(0)
	v_mul_f32_e32 v11, v114, v8
	v_fmac_f32_e32 v11, v113, v7
	v_mul_f32_e32 v7, v114, v7
	v_fma_f32 v7, v113, v8, -v7
	v_cvt_f64_f32_e32 v[11:12], v11
	v_cvt_f64_f32_e32 v[7:8], v7
	v_mad_u64_u32 v[15:16], s[2:3], s11, v98, v[1:2]
	v_mul_f64 v[11:12], v[11:12], s[0:1]
	v_mul_f64 v[7:8], v[7:8], s[0:1]
	v_mov_b32_e32 v1, v14
	v_mad_u64_u32 v[16:17], s[2:3], s9, v122, v[1:2]
	v_mov_b32_e32 v1, v15
	v_lshlrev_b64 v[0:1], 3, v[0:1]
	v_mov_b32_e32 v14, v16
	v_cvt_f32_f64_e32 v11, v[11:12]
	v_cvt_f32_f64_e32 v12, v[7:8]
	v_mul_f32_e32 v7, v112, v10
	v_fmac_f32_e32 v7, v111, v9
	v_mul_f32_e32 v9, v112, v9
	v_fma_f32 v9, v111, v10, -v9
	v_cvt_f64_f32_e32 v[7:8], v7
	v_cvt_f64_f32_e32 v[9:10], v9
	v_mov_b32_e32 v15, s5
	v_add_co_u32_e32 v17, vcc, s4, v0
	v_addc_co_u32_e32 v18, vcc, v15, v1, vcc
	v_lshlrev_b64 v[0:1], 3, v[13:14]
	v_mul_f64 v[13:14], v[7:8], s[0:1]
	v_mul_f64 v[15:16], v[9:10], s[0:1]
	ds_read2_b64 v[6:9], v6 offset0:106 offset1:223
	v_add_co_u32_e32 v0, vcc, v17, v0
	v_addc_co_u32_e32 v1, vcc, v18, v1, vcc
	global_store_dwordx2 v[0:1], v[11:12], off
	s_waitcnt lgkmcnt(0)
	v_mul_f32_e32 v12, v108, v7
	v_fmac_f32_e32 v12, v107, v6
	v_mul_f32_e32 v6, v108, v6
	v_fma_f32 v6, v107, v7, -v6
	v_cvt_f64_f32_e32 v[6:7], v6
	v_cvt_f32_f64_e32 v10, v[13:14]
	v_cvt_f64_f32_e32 v[12:13], v12
	v_cvt_f32_f64_e32 v11, v[15:16]
	v_mul_f64 v[6:7], v[6:7], s[0:1]
	s_mul_i32 s2, s9, 0x3a8
	v_mul_f64 v[12:13], v[12:13], s[0:1]
	s_mul_hi_u32 s3, s8, 0x3a8
	s_add_i32 s2, s3, s2
	s_mul_i32 s3, s8, 0x3a8
	v_mov_b32_e32 v14, s2
	v_add_co_u32_e32 v0, vcc, s3, v0
	v_addc_co_u32_e32 v1, vcc, v1, v14, vcc
	global_store_dwordx2 v[0:1], v[10:11], off
	v_cvt_f32_f64_e32 v11, v[6:7]
	v_mul_f32_e32 v6, v104, v9
	v_fmac_f32_e32 v6, v103, v8
	v_cvt_f32_f64_e32 v10, v[12:13]
	v_cvt_f64_f32_e32 v[12:13], v6
	v_mul_f32_e32 v6, v104, v8
	v_fma_f32 v6, v103, v9, -v6
	v_cvt_f64_f32_e32 v[14:15], v6
	ds_read2_b64 v[5:8], v5 offset0:84 offset1:201
	v_mov_b32_e32 v16, s2
	v_add_co_u32_e32 v0, vcc, s3, v0
	v_addc_co_u32_e32 v1, vcc, v1, v16, vcc
	global_store_dwordx2 v[0:1], v[10:11], off
	v_mul_f64 v[9:10], v[12:13], s[0:1]
	s_waitcnt lgkmcnt(0)
	v_mul_f32_e32 v13, v102, v6
	v_mul_f64 v[11:12], v[14:15], s[0:1]
	v_fmac_f32_e32 v13, v101, v5
	v_mul_f32_e32 v5, v102, v5
	v_fma_f32 v5, v101, v6, -v5
	v_cvt_f64_f32_e32 v[5:6], v5
	v_cvt_f64_f32_e32 v[13:14], v13
	v_cvt_f32_f64_e32 v9, v[9:10]
	v_add_co_u32_e32 v0, vcc, s3, v0
	v_mul_f64 v[5:6], v[5:6], s[0:1]
	v_cvt_f32_f64_e32 v10, v[11:12]
	v_mul_f64 v[11:12], v[13:14], s[0:1]
	v_mov_b32_e32 v13, s2
	v_addc_co_u32_e32 v1, vcc, v1, v13, vcc
	global_store_dwordx2 v[0:1], v[9:10], off
	v_mov_b32_e32 v15, s2
	v_cvt_f32_f64_e32 v10, v[5:6]
	v_mul_f32_e32 v5, v110, v8
	v_fmac_f32_e32 v5, v109, v7
	v_cvt_f32_f64_e32 v9, v[11:12]
	v_cvt_f64_f32_e32 v[11:12], v5
	v_mul_f32_e32 v5, v110, v7
	v_fma_f32 v5, v109, v8, -v5
	v_cvt_f64_f32_e32 v[13:14], v5
	ds_read2_b64 v[4:7], v4 offset0:62 offset1:179
	v_add_co_u32_e32 v0, vcc, s3, v0
	v_addc_co_u32_e32 v1, vcc, v1, v15, vcc
	global_store_dwordx2 v[0:1], v[9:10], off
	v_mul_f64 v[8:9], v[11:12], s[0:1]
	s_waitcnt lgkmcnt(0)
	v_mul_f32_e32 v12, v106, v5
	v_mul_f64 v[10:11], v[13:14], s[0:1]
	v_fmac_f32_e32 v12, v105, v4
	v_mul_f32_e32 v4, v106, v4
	v_fma_f32 v4, v105, v5, -v4
	v_cvt_f64_f32_e32 v[4:5], v4
	v_cvt_f64_f32_e32 v[12:13], v12
	v_cvt_f32_f64_e32 v8, v[8:9]
	v_add_co_u32_e32 v0, vcc, s3, v0
	v_mul_f64 v[4:5], v[4:5], s[0:1]
	v_cvt_f32_f64_e32 v9, v[10:11]
	v_mul_f64 v[10:11], v[12:13], s[0:1]
	v_mov_b32_e32 v12, s2
	v_addc_co_u32_e32 v1, vcc, v1, v12, vcc
	global_store_dwordx2 v[0:1], v[8:9], off
	v_mov_b32_e32 v14, s2
	v_cvt_f32_f64_e32 v9, v[4:5]
	v_mul_f32_e32 v4, v100, v7
	v_fmac_f32_e32 v4, v99, v6
	v_cvt_f32_f64_e32 v8, v[10:11]
	v_cvt_f64_f32_e32 v[10:11], v4
	v_mul_f32_e32 v4, v100, v6
	v_fma_f32 v4, v99, v7, -v4
	v_cvt_f64_f32_e32 v[12:13], v4
	ds_read2_b64 v[3:6], v3 offset0:40 offset1:157
	v_add_co_u32_e32 v0, vcc, s3, v0
	v_addc_co_u32_e32 v1, vcc, v1, v14, vcc
	global_store_dwordx2 v[0:1], v[8:9], off
	v_mul_f64 v[7:8], v[10:11], s[0:1]
	v_mul_f64 v[9:10], v[12:13], s[0:1]
	s_waitcnt lgkmcnt(0)
	v_mul_f32_e32 v11, v95, v4
	v_fmac_f32_e32 v11, v94, v3
	v_cvt_f64_f32_e32 v[11:12], v11
	v_mul_f32_e32 v3, v95, v3
	v_fma_f32 v3, v94, v4, -v3
	v_cvt_f64_f32_e32 v[3:4], v3
	v_cvt_f32_f64_e32 v7, v[7:8]
	v_cvt_f32_f64_e32 v8, v[9:10]
	v_mul_f64 v[9:10], v[11:12], s[0:1]
	v_mul_f64 v[3:4], v[3:4], s[0:1]
	v_mov_b32_e32 v12, s2
	v_add_co_u32_e32 v11, vcc, s3, v0
	v_mul_f32_e32 v0, v97, v6
	v_addc_co_u32_e32 v12, vcc, v1, v12, vcc
	v_fmac_f32_e32 v0, v96, v5
	global_store_dwordx2 v[11:12], v[7:8], off
	v_cvt_f32_f64_e32 v7, v[9:10]
	v_cvt_f64_f32_e32 v[9:10], v0
	v_mul_f32_e32 v0, v97, v5
	v_fma_f32 v0, v96, v6, -v0
	v_cvt_f32_f64_e32 v8, v[3:4]
	v_cvt_f64_f32_e32 v[4:5], v0
	ds_read2_b64 v[0:3], v2 offset0:18 offset1:135
	v_mov_b32_e32 v13, s2
	v_add_co_u32_e32 v11, vcc, s3, v11
	v_addc_co_u32_e32 v12, vcc, v12, v13, vcc
	global_store_dwordx2 v[11:12], v[7:8], off
	v_mul_f64 v[6:7], v[9:10], s[0:1]
	v_mul_f64 v[4:5], v[4:5], s[0:1]
	s_waitcnt lgkmcnt(0)
	v_mul_f32_e32 v8, v93, v1
	v_fmac_f32_e32 v8, v92, v0
	v_mul_f32_e32 v0, v93, v0
	v_fma_f32 v0, v92, v1, -v0
	v_cvt_f64_f32_e32 v[8:9], v8
	v_cvt_f64_f32_e32 v[0:1], v0
	v_cvt_f32_f64_e32 v6, v[6:7]
	v_cvt_f32_f64_e32 v7, v[4:5]
	v_mul_f64 v[4:5], v[8:9], s[0:1]
	v_mul_f64 v[0:1], v[0:1], s[0:1]
	v_mov_b32_e32 v9, s2
	v_add_co_u32_e32 v8, vcc, s3, v11
	v_addc_co_u32_e32 v9, vcc, v12, v9, vcc
	global_store_dwordx2 v[8:9], v[6:7], off
	v_cvt_f32_f64_e32 v4, v[4:5]
	v_cvt_f32_f64_e32 v5, v[0:1]
	v_mul_f32_e32 v0, v91, v3
	v_fmac_f32_e32 v0, v90, v2
	v_mul_f32_e32 v2, v91, v2
	v_fma_f32 v2, v90, v3, -v2
	v_cvt_f64_f32_e32 v[0:1], v0
	v_cvt_f64_f32_e32 v[2:3], v2
	ds_read_b64 v[6:7], v121 offset:11232
	v_mov_b32_e32 v10, s2
	v_add_co_u32_e32 v8, vcc, s3, v8
	v_addc_co_u32_e32 v9, vcc, v9, v10, vcc
	v_mul_f64 v[0:1], v[0:1], s[0:1]
	v_mul_f64 v[2:3], v[2:3], s[0:1]
	global_store_dwordx2 v[8:9], v[4:5], off
	s_waitcnt lgkmcnt(0)
	v_mul_f32_e32 v4, v89, v7
	v_fmac_f32_e32 v4, v88, v6
	v_mul_f32_e32 v6, v89, v6
	v_fma_f32 v6, v88, v7, -v6
	v_cvt_f64_f32_e32 v[4:5], v4
	v_cvt_f64_f32_e32 v[6:7], v6
	v_cvt_f32_f64_e32 v0, v[0:1]
	v_cvt_f32_f64_e32 v1, v[2:3]
	v_mul_f64 v[2:3], v[4:5], s[0:1]
	v_mul_f64 v[4:5], v[6:7], s[0:1]
	v_mov_b32_e32 v7, s2
	v_add_co_u32_e32 v6, vcc, s3, v8
	v_addc_co_u32_e32 v7, vcc, v9, v7, vcc
	global_store_dwordx2 v[6:7], v[0:1], off
	v_cvt_f32_f64_e32 v0, v[2:3]
	v_cvt_f32_f64_e32 v1, v[4:5]
	v_mov_b32_e32 v3, s2
	v_add_co_u32_e32 v2, vcc, s3, v6
	v_addc_co_u32_e32 v3, vcc, v7, v3, vcc
	global_store_dwordx2 v[2:3], v[0:1], off
.LBB0_18:
	s_endpgm
	.section	.rodata,"a",@progbits
	.p2align	6, 0x0
	.amdhsa_kernel bluestein_single_back_len1521_dim1_sp_op_CI_CI
		.amdhsa_group_segment_fixed_size 12168
		.amdhsa_private_segment_fixed_size 0
		.amdhsa_kernarg_size 104
		.amdhsa_user_sgpr_count 6
		.amdhsa_user_sgpr_private_segment_buffer 1
		.amdhsa_user_sgpr_dispatch_ptr 0
		.amdhsa_user_sgpr_queue_ptr 0
		.amdhsa_user_sgpr_kernarg_segment_ptr 1
		.amdhsa_user_sgpr_dispatch_id 0
		.amdhsa_user_sgpr_flat_scratch_init 0
		.amdhsa_user_sgpr_private_segment_size 0
		.amdhsa_uses_dynamic_stack 0
		.amdhsa_system_sgpr_private_segment_wavefront_offset 0
		.amdhsa_system_sgpr_workgroup_id_x 1
		.amdhsa_system_sgpr_workgroup_id_y 0
		.amdhsa_system_sgpr_workgroup_id_z 0
		.amdhsa_system_sgpr_workgroup_info 0
		.amdhsa_system_vgpr_workitem_id 0
		.amdhsa_next_free_vgpr 166
		.amdhsa_next_free_sgpr 20
		.amdhsa_reserve_vcc 1
		.amdhsa_reserve_flat_scratch 0
		.amdhsa_float_round_mode_32 0
		.amdhsa_float_round_mode_16_64 0
		.amdhsa_float_denorm_mode_32 3
		.amdhsa_float_denorm_mode_16_64 3
		.amdhsa_dx10_clamp 1
		.amdhsa_ieee_mode 1
		.amdhsa_fp16_overflow 0
		.amdhsa_exception_fp_ieee_invalid_op 0
		.amdhsa_exception_fp_denorm_src 0
		.amdhsa_exception_fp_ieee_div_zero 0
		.amdhsa_exception_fp_ieee_overflow 0
		.amdhsa_exception_fp_ieee_underflow 0
		.amdhsa_exception_fp_ieee_inexact 0
		.amdhsa_exception_int_div_zero 0
	.end_amdhsa_kernel
	.text
.Lfunc_end0:
	.size	bluestein_single_back_len1521_dim1_sp_op_CI_CI, .Lfunc_end0-bluestein_single_back_len1521_dim1_sp_op_CI_CI
                                        ; -- End function
	.section	.AMDGPU.csdata,"",@progbits
; Kernel info:
; codeLenInByte = 18964
; NumSgprs: 24
; NumVgprs: 166
; ScratchSize: 0
; MemoryBound: 0
; FloatMode: 240
; IeeeMode: 1
; LDSByteSize: 12168 bytes/workgroup (compile time only)
; SGPRBlocks: 2
; VGPRBlocks: 41
; NumSGPRsForWavesPerEU: 24
; NumVGPRsForWavesPerEU: 166
; Occupancy: 1
; WaveLimiterHint : 1
; COMPUTE_PGM_RSRC2:SCRATCH_EN: 0
; COMPUTE_PGM_RSRC2:USER_SGPR: 6
; COMPUTE_PGM_RSRC2:TRAP_HANDLER: 0
; COMPUTE_PGM_RSRC2:TGID_X_EN: 1
; COMPUTE_PGM_RSRC2:TGID_Y_EN: 0
; COMPUTE_PGM_RSRC2:TGID_Z_EN: 0
; COMPUTE_PGM_RSRC2:TIDIG_COMP_CNT: 0
	.type	__hip_cuid_7b19731c69dc4af1,@object ; @__hip_cuid_7b19731c69dc4af1
	.section	.bss,"aw",@nobits
	.globl	__hip_cuid_7b19731c69dc4af1
__hip_cuid_7b19731c69dc4af1:
	.byte	0                               ; 0x0
	.size	__hip_cuid_7b19731c69dc4af1, 1

	.ident	"AMD clang version 19.0.0git (https://github.com/RadeonOpenCompute/llvm-project roc-6.4.0 25133 c7fe45cf4b819c5991fe208aaa96edf142730f1d)"
	.section	".note.GNU-stack","",@progbits
	.addrsig
	.addrsig_sym __hip_cuid_7b19731c69dc4af1
	.amdgpu_metadata
---
amdhsa.kernels:
  - .args:
      - .actual_access:  read_only
        .address_space:  global
        .offset:         0
        .size:           8
        .value_kind:     global_buffer
      - .actual_access:  read_only
        .address_space:  global
        .offset:         8
        .size:           8
        .value_kind:     global_buffer
      - .actual_access:  read_only
        .address_space:  global
        .offset:         16
        .size:           8
        .value_kind:     global_buffer
      - .actual_access:  read_only
        .address_space:  global
        .offset:         24
        .size:           8
        .value_kind:     global_buffer
      - .actual_access:  read_only
        .address_space:  global
        .offset:         32
        .size:           8
        .value_kind:     global_buffer
      - .offset:         40
        .size:           8
        .value_kind:     by_value
      - .address_space:  global
        .offset:         48
        .size:           8
        .value_kind:     global_buffer
      - .address_space:  global
        .offset:         56
        .size:           8
        .value_kind:     global_buffer
      - .address_space:  global
        .offset:         64
        .size:           8
        .value_kind:     global_buffer
      - .address_space:  global
        .offset:         72
        .size:           8
        .value_kind:     global_buffer
      - .offset:         80
        .size:           4
        .value_kind:     by_value
      - .address_space:  global
        .offset:         88
        .size:           8
        .value_kind:     global_buffer
      - .address_space:  global
        .offset:         96
        .size:           8
        .value_kind:     global_buffer
    .group_segment_fixed_size: 12168
    .kernarg_segment_align: 8
    .kernarg_segment_size: 104
    .language:       OpenCL C
    .language_version:
      - 2
      - 0
    .max_flat_workgroup_size: 117
    .name:           bluestein_single_back_len1521_dim1_sp_op_CI_CI
    .private_segment_fixed_size: 0
    .sgpr_count:     24
    .sgpr_spill_count: 0
    .symbol:         bluestein_single_back_len1521_dim1_sp_op_CI_CI.kd
    .uniform_work_group_size: 1
    .uses_dynamic_stack: false
    .vgpr_count:     166
    .vgpr_spill_count: 0
    .wavefront_size: 64
amdhsa.target:   amdgcn-amd-amdhsa--gfx906
amdhsa.version:
  - 1
  - 2
...

	.end_amdgpu_metadata
